;; amdgpu-corpus repo=pytorch/pytorch kind=compiled arch=gfx950 opt=O3
	.amdgcn_target "amdgcn-amd-amdhsa--gfx950"
	.amdhsa_code_object_version 6
	.section	.text._ZN2at6native12cross_kernelIh16OffsetCalculatorILi3EjLb0EElEEviPT_PKS4_S7_T0_T1_S9_S9_,"axG",@progbits,_ZN2at6native12cross_kernelIh16OffsetCalculatorILi3EjLb0EElEEviPT_PKS4_S7_T0_T1_S9_S9_,comdat
	.protected	_ZN2at6native12cross_kernelIh16OffsetCalculatorILi3EjLb0EElEEviPT_PKS4_S7_T0_T1_S9_S9_ ; -- Begin function _ZN2at6native12cross_kernelIh16OffsetCalculatorILi3EjLb0EElEEviPT_PKS4_S7_T0_T1_S9_S9_
	.globl	_ZN2at6native12cross_kernelIh16OffsetCalculatorILi3EjLb0EElEEviPT_PKS4_S7_T0_T1_S9_S9_
	.p2align	8
	.type	_ZN2at6native12cross_kernelIh16OffsetCalculatorILi3EjLb0EElEEviPT_PKS4_S7_T0_T1_S9_S9_,@function
_ZN2at6native12cross_kernelIh16OffsetCalculatorILi3EjLb0EElEEviPT_PKS4_S7_T0_T1_S9_S9_: ; @_ZN2at6native12cross_kernelIh16OffsetCalculatorILi3EjLb0EElEEviPT_PKS4_S7_T0_T1_S9_S9_
; %bb.0:
	s_load_dword s6, s[0:1], 0x0
	s_load_dword s3, s[0:1], 0x1cc
	v_mov_b32_e32 v1, 0
	v_mov_b32_e32 v2, s2
	s_waitcnt lgkmcnt(0)
	s_ashr_i32 s7, s6, 31
	s_add_u32 s4, s0, 0x1c0
	s_addc_u32 s5, s1, 0
	s_and_b32 s3, s3, 0xffff
	v_mad_u64_u32 v[2:3], s[8:9], s3, v2, v[0:1]
	v_cmp_gt_i64_e32 vcc, s[6:7], v[2:3]
	s_and_saveexec_b64 s[8:9], vcc
	s_cbranch_execz .LBB0_17
; %bb.1:
	s_load_dwordx4 s[36:39], s[0:1], 0x8
	s_load_dwordx2 s[34:35], s[0:1], 0x18
	s_load_dwordx8 s[8:15], s[0:1], 0x20
	s_load_dwordx2 s[56:57], s[0:1], 0x1b8
	s_load_dwordx4 s[40:43], s[0:1], 0x1a8
	s_load_dword s2, s[4:5], 0x0
	s_load_dwordx4 s[44:47], s[0:1], 0xe4
	s_load_dwordx2 s[62:63], s[0:1], 0xf4
	s_waitcnt lgkmcnt(0)
	v_sub_co_u32_e64 v0, s[4:5], s8, 1
	s_xor_b64 s[4:5], s[4:5], -1
	s_add_u32 s58, s0, 36
	v_readfirstlane_b32 s15, v0
	s_addc_u32 s59, s1, 0
	s_min_u32 s16, s15, 15
	s_cmp_gt_u32 s8, 1
	s_cselect_b64 s[64:65], -1, 0
	s_add_i32 s16, s16, 1
	v_cmp_lt_u32_e32 vcc, 1, v0
	s_mov_b32 s15, s45
	s_mov_b32 s8, s13
	s_lshl_b64 s[66:67], s[56:57], 1
	s_and_b32 s13, s16, 3
	s_and_b32 s45, s16, 28
	v_cndmask_b32_e64 v4, 0, 1, vcc
	v_cmp_ne_u32_e32 vcc, 2, v0
	s_cmp_lg_u32 s13, 0
	v_cndmask_b32_e64 v5, 0, 1, s[4:5]
	v_cndmask_b32_e64 v0, 0, 1, vcc
	s_mov_b32 s61, 0
	s_mov_b32 s33, s46
	s_mul_i32 s60, s2, s3
	s_mov_b64 s[68:69], 0
	s_cselect_b64 s[70:71], -1, 0
	v_cmp_ne_u32_e64 s[0:1], 1, v4
	v_cmp_ne_u32_e64 s[2:3], 1, v5
	;; [unrolled: 1-line block ×3, first 2 shown]
	s_branch .LBB0_3
.LBB0_2:                                ;   in Loop: Header=BB0_3 Depth=1
	v_mov_b32_e32 v5, v1
	v_mov_b32_e32 v7, v1
	v_lshl_add_u64 v[8:9], s[38:39], 0, v[4:5]
	v_lshl_add_u64 v[10:11], s[34:35], 0, v[6:7]
	;; [unrolled: 1-line block ×4, first 2 shown]
	global_load_ubyte v14, v[8:9], off
	v_lshl_add_u64 v[8:9], v[8:9], 0, s[42:43]
	global_load_ubyte v12, v[12:13], off
	v_lshl_add_u64 v[10:11], v[10:11], 0, s[56:57]
	global_load_ubyte v13, v4, s[38:39]
	global_load_ubyte v15, v[10:11], off
	global_load_ubyte v16, v6, s[34:35]
	global_load_ubyte v17, v[8:9], off
	v_lshl_add_u64 v[2:3], v[2:3], 0, s[60:61]
	v_lshl_add_u64 v[4:5], s[36:37], 0, v[0:1]
	v_cmp_le_i64_e32 vcc, s[6:7], v[2:3]
	v_lshl_add_u64 v[4:5], v[4:5], 0, s[40:41]
	s_or_b64 s[68:69], vcc, s[68:69]
	v_lshl_add_u64 v[6:7], v[4:5], 0, s[40:41]
	s_waitcnt vmcnt(2)
	v_mul_lo_u16_e32 v10, v13, v15
	v_mul_lo_u16_e32 v8, v12, v14
	;; [unrolled: 1-line block ×3, first 2 shown]
	s_waitcnt vmcnt(0)
	v_mul_lo_u16_e32 v12, v15, v17
	v_mul_lo_u16_e32 v11, v16, v14
	;; [unrolled: 1-line block ×3, first 2 shown]
	v_sub_u16_e32 v8, v8, v12
	v_sub_u16_e32 v10, v10, v11
	;; [unrolled: 1-line block ×3, first 2 shown]
	global_store_byte v0, v8, s[36:37]
	global_store_byte v[4:5], v9, off
	global_store_byte v[6:7], v10, off
	s_andn2_b64 exec, exec, s[68:69]
	s_cbranch_execz .LBB0_17
.LBB0_3:                                ; =>This Loop Header: Depth=1
                                        ;     Child Loop BB0_7 Depth 2
                                        ;     Child Loop BB0_11 Depth 2
	s_and_b64 vcc, exec, s[0:1]
	s_mov_b64 s[16:17], -1
                                        ; implicit-def: $vgpr6
                                        ; implicit-def: $vgpr4
	s_cbranch_vccnz .LBB0_14
; %bb.4:                                ;   in Loop: Header=BB0_3 Depth=1
	v_mov_b32_e32 v6, 0
	s_and_b64 vcc, exec, s[2:3]
	v_mov_b32_e32 v4, 0
	v_mov_b32_e32 v0, 0
	s_cbranch_vccnz .LBB0_13
; %bb.5:                                ;   in Loop: Header=BB0_3 Depth=1
	s_and_b64 vcc, exec, s[4:5]
	s_cbranch_vccnz .LBB0_9
; %bb.6:                                ;   in Loop: Header=BB0_3 Depth=1
	v_mov_b32_e32 v8, 0
	s_mov_b32 s46, 0
	s_mov_b64 s[72:73], s[58:59]
	v_mov_b32_e32 v0, v2
	v_mov_b32_e32 v4, 0
	;; [unrolled: 1-line block ×3, first 2 shown]
.LBB0_7:                                ;   Parent Loop BB0_3 Depth=1
                                        ; =>  This Inner Loop Header: Depth=2
	s_load_dwordx8 s[16:23], s[72:73], 0x0
	s_load_dwordx4 s[48:51], s[72:73], 0x20
	s_load_dwordx4 s[52:55], s[72:73], 0xe0
	s_load_dwordx8 s[24:31], s[72:73], 0xc0
	s_add_i32 s46, s46, 4
	s_waitcnt lgkmcnt(0)
	v_mul_hi_u32 v5, s17, v0
	v_add_u32_e32 v5, v0, v5
	v_lshrrev_b32_e32 v5, s18, v5
	v_mul_lo_u32 v7, v5, s16
	v_mul_hi_u32 v9, s20, v5
	v_sub_u32_e32 v0, v0, v7
	v_add_u32_e32 v7, v5, v9
	v_lshrrev_b32_e32 v7, s21, v7
	v_mul_lo_u32 v11, v7, s19
	v_mul_hi_u32 v12, s23, v7
	v_sub_u32_e32 v5, v5, v11
	v_add_u32_e32 v11, v7, v12
	v_mul_lo_u32 v9, v0, s24
	v_mul_lo_u32 v10, v0, s26
	;; [unrolled: 1-line block ×6, first 2 shown]
	v_lshrrev_b32_e32 v11, s48, v11
	v_add3_u32 v4, v0, v4, v5
	v_add3_u32 v5, v10, v6, v13
	v_mul_lo_u32 v0, v11, s22
	v_mul_hi_u32 v6, s50, v11
	v_sub_u32_e32 v0, v7, v0
	v_add_u32_e32 v6, v11, v6
	v_add3_u32 v8, v9, v8, v12
	v_mul_lo_u32 v7, v0, s30
	v_mul_lo_u32 v9, v0, s31
	;; [unrolled: 1-line block ×3, first 2 shown]
	v_lshrrev_b32_e32 v0, s51, v6
	v_mul_lo_u32 v6, v0, s49
	s_add_u32 s72, s72, 48
	v_sub_u32_e32 v6, v11, v6
	s_addc_u32 s73, s73, 0
	v_mul_lo_u32 v11, v6, s53
	v_mul_lo_u32 v12, v6, s54
	;; [unrolled: 1-line block ×3, first 2 shown]
	s_cmp_lg_u32 s45, s46
	v_add3_u32 v8, v7, v8, v11
	v_add3_u32 v6, v10, v5, v6
	;; [unrolled: 1-line block ×3, first 2 shown]
	s_cbranch_scc1 .LBB0_7
; %bb.8:                                ;   in Loop: Header=BB0_3 Depth=1
	v_mov_b32_e32 v5, v6
	s_mov_b32 s16, s45
	s_andn2_b64 vcc, exec, s[70:71]
	s_cbranch_vccz .LBB0_10
	s_branch .LBB0_12
.LBB0_9:                                ;   in Loop: Header=BB0_3 Depth=1
	v_mov_b32_e32 v0, v1
	s_mov_b32 s16, 0
	v_mov_b32_e32 v8, 0
                                        ; implicit-def: $vgpr6
	v_mov_b64_e32 v[4:5], v[0:1]
	v_mov_b32_e32 v0, v2
	s_andn2_b64 vcc, exec, s[70:71]
	s_cbranch_vccnz .LBB0_12
.LBB0_10:                               ;   in Loop: Header=BB0_3 Depth=1
	s_mul_i32 s16, s16, 12
	s_add_u32 s16, s58, s16
	s_addc_u32 s17, s59, 0
	s_mov_b32 s18, s13
.LBB0_11:                               ;   Parent Loop BB0_3 Depth=1
                                        ; =>  This Inner Loop Header: Depth=2
	s_load_dwordx2 s[20:21], s[16:17], 0x0
	s_load_dword s19, s[16:17], 0x8
	s_load_dwordx2 s[22:23], s[16:17], 0xc0
	s_load_dword s24, s[16:17], 0xc8
	v_mov_b32_e32 v6, v5
	s_waitcnt lgkmcnt(0)
	v_mul_hi_u32 v7, s21, v0
	v_add_u32_e32 v7, v0, v7
	v_lshrrev_b32_e32 v7, s19, v7
	v_mul_lo_u32 v9, v7, s20
	s_add_u32 s16, s16, 12
	v_sub_u32_e32 v10, v0, v9
	s_addc_u32 s17, s17, 0
	s_add_i32 s18, s18, -1
	v_mov_b32_e32 v0, v7
	v_mad_u64_u32 v[6:7], s[20:21], v10, s24, v[6:7]
	v_mad_u64_u32 v[4:5], s[20:21], v10, s23, v[4:5]
	s_cmp_lg_u32 s18, 0
	v_mad_u64_u32 v[8:9], s[20:21], v10, s22, v[8:9]
	v_mov_b32_e32 v5, v6
	s_cbranch_scc1 .LBB0_11
.LBB0_12:                               ;   in Loop: Header=BB0_3 Depth=1
	v_mov_b32_e32 v0, v8
.LBB0_13:                               ;   in Loop: Header=BB0_3 Depth=1
	s_mov_b64 s[16:17], 0
.LBB0_14:                               ;   in Loop: Header=BB0_3 Depth=1
	s_andn2_b64 vcc, exec, s[16:17]
	s_cbranch_vccnz .LBB0_2
; %bb.15:                               ;   in Loop: Header=BB0_3 Depth=1
	v_mul_lo_u32 v0, v3, s10
	v_mul_hi_u32 v4, v2, s10
	v_add3_u32 v0, v4, v0, v2
	v_lshrrev_b32_e32 v5, s11, v0
	v_mul_lo_u32 v0, v5, s9
	v_sub_u32_e32 v4, v2, v0
	v_mul_lo_u32 v0, v4, s44
	v_mul_lo_u32 v6, v4, s33
	s_andn2_b64 vcc, exec, s[64:65]
	v_mul_lo_u32 v4, v4, s15
	s_cbranch_vccnz .LBB0_2
; %bb.16:                               ;   in Loop: Header=BB0_3 Depth=1
	v_mul_hi_u32 v7, s8, v5
	v_add_u32_e32 v7, v5, v7
	v_lshrrev_b32_e32 v7, s14, v7
	v_mul_lo_u32 v7, v7, s12
	v_sub_u32_e32 v7, v5, v7
	v_mad_u64_u32 v[8:9], s[16:17], v7, s47, v[0:1]
	v_mad_u64_u32 v[4:5], s[16:17], v7, s62, v[4:5]
	;; [unrolled: 1-line block ×3, first 2 shown]
	v_mov_b32_e32 v0, v8
	s_branch .LBB0_2
.LBB0_17:
	s_endpgm
	.section	.rodata,"a",@progbits
	.p2align	6, 0x0
	.amdhsa_kernel _ZN2at6native12cross_kernelIh16OffsetCalculatorILi3EjLb0EElEEviPT_PKS4_S7_T0_T1_S9_S9_
		.amdhsa_group_segment_fixed_size 0
		.amdhsa_private_segment_fixed_size 0
		.amdhsa_kernarg_size 704
		.amdhsa_user_sgpr_count 2
		.amdhsa_user_sgpr_dispatch_ptr 0
		.amdhsa_user_sgpr_queue_ptr 0
		.amdhsa_user_sgpr_kernarg_segment_ptr 1
		.amdhsa_user_sgpr_dispatch_id 0
		.amdhsa_user_sgpr_kernarg_preload_length 0
		.amdhsa_user_sgpr_kernarg_preload_offset 0
		.amdhsa_user_sgpr_private_segment_size 0
		.amdhsa_uses_dynamic_stack 0
		.amdhsa_enable_private_segment 0
		.amdhsa_system_sgpr_workgroup_id_x 1
		.amdhsa_system_sgpr_workgroup_id_y 0
		.amdhsa_system_sgpr_workgroup_id_z 0
		.amdhsa_system_sgpr_workgroup_info 0
		.amdhsa_system_vgpr_workitem_id 0
		.amdhsa_next_free_vgpr 18
		.amdhsa_next_free_sgpr 74
		.amdhsa_accum_offset 20
		.amdhsa_reserve_vcc 1
		.amdhsa_float_round_mode_32 0
		.amdhsa_float_round_mode_16_64 0
		.amdhsa_float_denorm_mode_32 3
		.amdhsa_float_denorm_mode_16_64 3
		.amdhsa_dx10_clamp 1
		.amdhsa_ieee_mode 1
		.amdhsa_fp16_overflow 0
		.amdhsa_tg_split 0
		.amdhsa_exception_fp_ieee_invalid_op 0
		.amdhsa_exception_fp_denorm_src 0
		.amdhsa_exception_fp_ieee_div_zero 0
		.amdhsa_exception_fp_ieee_overflow 0
		.amdhsa_exception_fp_ieee_underflow 0
		.amdhsa_exception_fp_ieee_inexact 0
		.amdhsa_exception_int_div_zero 0
	.end_amdhsa_kernel
	.section	.text._ZN2at6native12cross_kernelIh16OffsetCalculatorILi3EjLb0EElEEviPT_PKS4_S7_T0_T1_S9_S9_,"axG",@progbits,_ZN2at6native12cross_kernelIh16OffsetCalculatorILi3EjLb0EElEEviPT_PKS4_S7_T0_T1_S9_S9_,comdat
.Lfunc_end0:
	.size	_ZN2at6native12cross_kernelIh16OffsetCalculatorILi3EjLb0EElEEviPT_PKS4_S7_T0_T1_S9_S9_, .Lfunc_end0-_ZN2at6native12cross_kernelIh16OffsetCalculatorILi3EjLb0EElEEviPT_PKS4_S7_T0_T1_S9_S9_
                                        ; -- End function
	.set _ZN2at6native12cross_kernelIh16OffsetCalculatorILi3EjLb0EElEEviPT_PKS4_S7_T0_T1_S9_S9_.num_vgpr, 18
	.set _ZN2at6native12cross_kernelIh16OffsetCalculatorILi3EjLb0EElEEviPT_PKS4_S7_T0_T1_S9_S9_.num_agpr, 0
	.set _ZN2at6native12cross_kernelIh16OffsetCalculatorILi3EjLb0EElEEviPT_PKS4_S7_T0_T1_S9_S9_.numbered_sgpr, 74
	.set _ZN2at6native12cross_kernelIh16OffsetCalculatorILi3EjLb0EElEEviPT_PKS4_S7_T0_T1_S9_S9_.num_named_barrier, 0
	.set _ZN2at6native12cross_kernelIh16OffsetCalculatorILi3EjLb0EElEEviPT_PKS4_S7_T0_T1_S9_S9_.private_seg_size, 0
	.set _ZN2at6native12cross_kernelIh16OffsetCalculatorILi3EjLb0EElEEviPT_PKS4_S7_T0_T1_S9_S9_.uses_vcc, 1
	.set _ZN2at6native12cross_kernelIh16OffsetCalculatorILi3EjLb0EElEEviPT_PKS4_S7_T0_T1_S9_S9_.uses_flat_scratch, 0
	.set _ZN2at6native12cross_kernelIh16OffsetCalculatorILi3EjLb0EElEEviPT_PKS4_S7_T0_T1_S9_S9_.has_dyn_sized_stack, 0
	.set _ZN2at6native12cross_kernelIh16OffsetCalculatorILi3EjLb0EElEEviPT_PKS4_S7_T0_T1_S9_S9_.has_recursion, 0
	.set _ZN2at6native12cross_kernelIh16OffsetCalculatorILi3EjLb0EElEEviPT_PKS4_S7_T0_T1_S9_S9_.has_indirect_call, 0
	.section	.AMDGPU.csdata,"",@progbits
; Kernel info:
; codeLenInByte = 1216
; TotalNumSgprs: 80
; NumVgprs: 18
; NumAgprs: 0
; TotalNumVgprs: 18
; ScratchSize: 0
; MemoryBound: 0
; FloatMode: 240
; IeeeMode: 1
; LDSByteSize: 0 bytes/workgroup (compile time only)
; SGPRBlocks: 9
; VGPRBlocks: 2
; NumSGPRsForWavesPerEU: 80
; NumVGPRsForWavesPerEU: 18
; AccumOffset: 20
; Occupancy: 8
; WaveLimiterHint : 1
; COMPUTE_PGM_RSRC2:SCRATCH_EN: 0
; COMPUTE_PGM_RSRC2:USER_SGPR: 2
; COMPUTE_PGM_RSRC2:TRAP_HANDLER: 0
; COMPUTE_PGM_RSRC2:TGID_X_EN: 1
; COMPUTE_PGM_RSRC2:TGID_Y_EN: 0
; COMPUTE_PGM_RSRC2:TGID_Z_EN: 0
; COMPUTE_PGM_RSRC2:TIDIG_COMP_CNT: 0
; COMPUTE_PGM_RSRC3_GFX90A:ACCUM_OFFSET: 4
; COMPUTE_PGM_RSRC3_GFX90A:TG_SPLIT: 0
	.section	.text._ZN2at6native12cross_kernelIh16OffsetCalculatorILi3EjLb0EEiEEviPT_PKS4_S7_T0_T1_S9_S9_,"axG",@progbits,_ZN2at6native12cross_kernelIh16OffsetCalculatorILi3EjLb0EEiEEviPT_PKS4_S7_T0_T1_S9_S9_,comdat
	.protected	_ZN2at6native12cross_kernelIh16OffsetCalculatorILi3EjLb0EEiEEviPT_PKS4_S7_T0_T1_S9_S9_ ; -- Begin function _ZN2at6native12cross_kernelIh16OffsetCalculatorILi3EjLb0EEiEEviPT_PKS4_S7_T0_T1_S9_S9_
	.globl	_ZN2at6native12cross_kernelIh16OffsetCalculatorILi3EjLb0EEiEEviPT_PKS4_S7_T0_T1_S9_S9_
	.p2align	8
	.type	_ZN2at6native12cross_kernelIh16OffsetCalculatorILi3EjLb0EEiEEviPT_PKS4_S7_T0_T1_S9_S9_,@function
_ZN2at6native12cross_kernelIh16OffsetCalculatorILi3EjLb0EEiEEviPT_PKS4_S7_T0_T1_S9_S9_: ; @_ZN2at6native12cross_kernelIh16OffsetCalculatorILi3EjLb0EEiEEviPT_PKS4_S7_T0_T1_S9_S9_
; %bb.0:
	s_load_dword s6, s[0:1], 0x0
	s_load_dword s3, s[0:1], 0x1bc
	v_mov_b32_e32 v1, 0
	v_mov_b32_e32 v2, s2
	s_waitcnt lgkmcnt(0)
	s_ashr_i32 s7, s6, 31
	s_add_u32 s4, s0, 0x1b0
	s_addc_u32 s5, s1, 0
	s_and_b32 s3, s3, 0xffff
	v_mad_u64_u32 v[2:3], s[8:9], s3, v2, v[0:1]
	v_cmp_gt_i64_e32 vcc, s[6:7], v[2:3]
	s_and_saveexec_b64 s[8:9], vcc
	s_cbranch_execz .LBB1_17
; %bb.1:
	s_load_dwordx4 s[36:39], s[0:1], 0x1a4
	s_load_dwordx8 s[8:15], s[0:1], 0x20
	s_load_dwordx4 s[40:43], s[0:1], 0x8
	s_load_dwordx2 s[34:35], s[0:1], 0x18
	s_load_dword s2, s[4:5], 0x0
	s_load_dwordx4 s[44:47], s[0:1], 0xe4
	s_load_dwordx2 s[62:63], s[0:1], 0xf4
	s_waitcnt lgkmcnt(0)
	v_sub_co_u32_e64 v0, s[4:5], s8, 1
	s_xor_b64 s[4:5], s[4:5], -1
	s_add_u32 s58, s0, 36
	v_readfirstlane_b32 s15, v0
	s_addc_u32 s59, s1, 0
	s_min_u32 s16, s15, 15
	s_cmp_gt_u32 s8, 1
	s_cselect_b64 s[64:65], -1, 0
	s_lshl_b32 s66, s38, 1
	s_add_i32 s16, s16, 1
	s_mov_b32 s56, s37
	s_mov_b32 s15, s45
	;; [unrolled: 1-line block ×3, first 2 shown]
	s_ashr_i32 s57, s37, 31
	s_ashr_i32 s67, s66, 31
	;; [unrolled: 1-line block ×4, first 2 shown]
	s_and_b32 s13, s16, 3
	s_and_b32 s45, s16, 28
	v_cmp_lt_u32_e32 vcc, 1, v0
	s_cmp_lg_u32 s13, 0
	v_cndmask_b32_e64 v5, 0, 1, s[4:5]
	v_cndmask_b32_e64 v4, 0, 1, vcc
	s_mov_b32 s61, 0
	s_mov_b32 s33, s46
	s_mul_i32 s60, s2, s3
	s_mov_b64 s[68:69], 0
	v_cmp_ne_u32_e64 s[0:1], 2, v0
	s_cselect_b64 s[70:71], -1, 0
	v_cmp_ne_u32_e64 s[2:3], 1, v4
	v_cmp_ne_u32_e64 s[4:5], 1, v5
	s_branch .LBB1_3
.LBB1_2:                                ;   in Loop: Header=BB1_3 Depth=1
	v_mov_b32_e32 v5, v1
	v_mov_b32_e32 v7, v1
	v_lshl_add_u64 v[8:9], s[42:43], 0, v[4:5]
	v_lshl_add_u64 v[10:11], s[34:35], 0, v[6:7]
	;; [unrolled: 1-line block ×4, first 2 shown]
	global_load_ubyte v14, v[8:9], off
	v_lshl_add_u64 v[8:9], v[8:9], 0, s[56:57]
	global_load_ubyte v12, v[12:13], off
	v_lshl_add_u64 v[10:11], v[10:11], 0, s[38:39]
	global_load_ubyte v13, v4, s[42:43]
	global_load_ubyte v15, v[10:11], off
	global_load_ubyte v16, v6, s[34:35]
	global_load_ubyte v17, v[8:9], off
	v_lshl_add_u64 v[2:3], v[2:3], 0, s[60:61]
	v_lshl_add_u64 v[4:5], s[40:41], 0, v[0:1]
	v_cmp_le_i64_e32 vcc, s[6:7], v[2:3]
	v_lshl_add_u64 v[4:5], v[4:5], 0, s[36:37]
	s_or_b64 s[68:69], vcc, s[68:69]
	v_lshl_add_u64 v[6:7], v[4:5], 0, s[36:37]
	s_waitcnt vmcnt(2)
	v_mul_lo_u16_e32 v10, v13, v15
	v_mul_lo_u16_e32 v8, v12, v14
	;; [unrolled: 1-line block ×3, first 2 shown]
	s_waitcnt vmcnt(0)
	v_mul_lo_u16_e32 v12, v15, v17
	v_mul_lo_u16_e32 v11, v16, v14
	;; [unrolled: 1-line block ×3, first 2 shown]
	v_sub_u16_e32 v8, v8, v12
	v_sub_u16_e32 v10, v10, v11
	;; [unrolled: 1-line block ×3, first 2 shown]
	global_store_byte v0, v8, s[40:41]
	global_store_byte v[4:5], v9, off
	global_store_byte v[6:7], v10, off
	s_andn2_b64 exec, exec, s[68:69]
	s_cbranch_execz .LBB1_17
.LBB1_3:                                ; =>This Loop Header: Depth=1
                                        ;     Child Loop BB1_7 Depth 2
                                        ;     Child Loop BB1_11 Depth 2
	s_and_b64 vcc, exec, s[2:3]
	s_mov_b64 s[16:17], -1
                                        ; implicit-def: $vgpr6
                                        ; implicit-def: $vgpr4
	s_cbranch_vccnz .LBB1_14
; %bb.4:                                ;   in Loop: Header=BB1_3 Depth=1
	v_mov_b32_e32 v6, 0
	s_and_b64 vcc, exec, s[4:5]
	v_mov_b32_e32 v4, 0
	v_mov_b32_e32 v0, 0
	s_cbranch_vccnz .LBB1_13
; %bb.5:                                ;   in Loop: Header=BB1_3 Depth=1
	s_andn2_b64 vcc, exec, s[0:1]
	s_cbranch_vccnz .LBB1_9
; %bb.6:                                ;   in Loop: Header=BB1_3 Depth=1
	v_mov_b32_e32 v8, 0
	s_mov_b32 s46, 0
	s_mov_b64 s[72:73], s[58:59]
	v_mov_b32_e32 v0, v2
	v_mov_b32_e32 v4, 0
	;; [unrolled: 1-line block ×3, first 2 shown]
.LBB1_7:                                ;   Parent Loop BB1_3 Depth=1
                                        ; =>  This Inner Loop Header: Depth=2
	s_load_dwordx8 s[16:23], s[72:73], 0x0
	s_load_dwordx4 s[48:51], s[72:73], 0x20
	s_load_dwordx4 s[52:55], s[72:73], 0xe0
	s_load_dwordx8 s[24:31], s[72:73], 0xc0
	s_add_i32 s46, s46, 4
	s_waitcnt lgkmcnt(0)
	v_mul_hi_u32 v5, s17, v0
	v_add_u32_e32 v5, v0, v5
	v_lshrrev_b32_e32 v5, s18, v5
	v_mul_lo_u32 v7, v5, s16
	v_mul_hi_u32 v9, s20, v5
	v_sub_u32_e32 v0, v0, v7
	v_add_u32_e32 v7, v5, v9
	v_lshrrev_b32_e32 v7, s21, v7
	v_mul_lo_u32 v11, v7, s19
	v_mul_hi_u32 v12, s23, v7
	v_sub_u32_e32 v5, v5, v11
	v_add_u32_e32 v11, v7, v12
	v_mul_lo_u32 v9, v0, s24
	v_mul_lo_u32 v10, v0, s26
	;; [unrolled: 1-line block ×6, first 2 shown]
	v_lshrrev_b32_e32 v11, s48, v11
	v_add3_u32 v4, v0, v4, v5
	v_add3_u32 v5, v10, v6, v13
	v_mul_lo_u32 v0, v11, s22
	v_mul_hi_u32 v6, s50, v11
	v_sub_u32_e32 v0, v7, v0
	v_add_u32_e32 v6, v11, v6
	v_add3_u32 v8, v9, v8, v12
	v_mul_lo_u32 v7, v0, s30
	v_mul_lo_u32 v9, v0, s31
	;; [unrolled: 1-line block ×3, first 2 shown]
	v_lshrrev_b32_e32 v0, s51, v6
	v_mul_lo_u32 v6, v0, s49
	s_add_u32 s72, s72, 48
	v_sub_u32_e32 v6, v11, v6
	s_addc_u32 s73, s73, 0
	v_mul_lo_u32 v11, v6, s53
	v_mul_lo_u32 v12, v6, s54
	;; [unrolled: 1-line block ×3, first 2 shown]
	s_cmp_lg_u32 s45, s46
	v_add3_u32 v8, v7, v8, v11
	v_add3_u32 v6, v10, v5, v6
	;; [unrolled: 1-line block ×3, first 2 shown]
	s_cbranch_scc1 .LBB1_7
; %bb.8:                                ;   in Loop: Header=BB1_3 Depth=1
	v_mov_b32_e32 v5, v6
	s_mov_b32 s16, s45
	s_andn2_b64 vcc, exec, s[70:71]
	s_cbranch_vccz .LBB1_10
	s_branch .LBB1_12
.LBB1_9:                                ;   in Loop: Header=BB1_3 Depth=1
	v_mov_b32_e32 v0, v1
	s_mov_b32 s16, 0
	v_mov_b32_e32 v8, 0
                                        ; implicit-def: $vgpr6
	v_mov_b64_e32 v[4:5], v[0:1]
	v_mov_b32_e32 v0, v2
	s_andn2_b64 vcc, exec, s[70:71]
	s_cbranch_vccnz .LBB1_12
.LBB1_10:                               ;   in Loop: Header=BB1_3 Depth=1
	s_mul_i32 s16, s16, 12
	s_add_u32 s16, s58, s16
	s_addc_u32 s17, s59, 0
	s_mov_b32 s18, s13
.LBB1_11:                               ;   Parent Loop BB1_3 Depth=1
                                        ; =>  This Inner Loop Header: Depth=2
	s_load_dwordx2 s[20:21], s[16:17], 0x0
	s_load_dword s19, s[16:17], 0x8
	s_load_dwordx2 s[22:23], s[16:17], 0xc0
	s_load_dword s24, s[16:17], 0xc8
	v_mov_b32_e32 v6, v5
	s_waitcnt lgkmcnt(0)
	v_mul_hi_u32 v7, s21, v0
	v_add_u32_e32 v7, v0, v7
	v_lshrrev_b32_e32 v7, s19, v7
	v_mul_lo_u32 v9, v7, s20
	s_add_u32 s16, s16, 12
	v_sub_u32_e32 v10, v0, v9
	s_addc_u32 s17, s17, 0
	s_add_i32 s18, s18, -1
	v_mov_b32_e32 v0, v7
	v_mad_u64_u32 v[6:7], s[20:21], v10, s24, v[6:7]
	v_mad_u64_u32 v[4:5], s[20:21], v10, s23, v[4:5]
	s_cmp_lg_u32 s18, 0
	v_mad_u64_u32 v[8:9], s[20:21], v10, s22, v[8:9]
	v_mov_b32_e32 v5, v6
	s_cbranch_scc1 .LBB1_11
.LBB1_12:                               ;   in Loop: Header=BB1_3 Depth=1
	v_mov_b32_e32 v0, v8
.LBB1_13:                               ;   in Loop: Header=BB1_3 Depth=1
	s_mov_b64 s[16:17], 0
.LBB1_14:                               ;   in Loop: Header=BB1_3 Depth=1
	s_andn2_b64 vcc, exec, s[16:17]
	s_cbranch_vccnz .LBB1_2
; %bb.15:                               ;   in Loop: Header=BB1_3 Depth=1
	v_mul_lo_u32 v0, v3, s10
	v_mul_hi_u32 v4, v2, s10
	v_add3_u32 v0, v4, v0, v2
	v_lshrrev_b32_e32 v5, s11, v0
	v_mul_lo_u32 v0, v5, s9
	v_sub_u32_e32 v4, v2, v0
	v_mul_lo_u32 v0, v4, s44
	v_mul_lo_u32 v6, v4, s33
	s_andn2_b64 vcc, exec, s[64:65]
	v_mul_lo_u32 v4, v4, s15
	s_cbranch_vccnz .LBB1_2
; %bb.16:                               ;   in Loop: Header=BB1_3 Depth=1
	v_mul_hi_u32 v7, s8, v5
	v_add_u32_e32 v7, v5, v7
	v_lshrrev_b32_e32 v7, s14, v7
	v_mul_lo_u32 v7, v7, s12
	v_sub_u32_e32 v7, v5, v7
	v_mad_u64_u32 v[8:9], s[16:17], v7, s47, v[0:1]
	v_mad_u64_u32 v[4:5], s[16:17], v7, s62, v[4:5]
	;; [unrolled: 1-line block ×3, first 2 shown]
	v_mov_b32_e32 v0, v8
	s_branch .LBB1_2
.LBB1_17:
	s_endpgm
	.section	.rodata,"a",@progbits
	.p2align	6, 0x0
	.amdhsa_kernel _ZN2at6native12cross_kernelIh16OffsetCalculatorILi3EjLb0EEiEEviPT_PKS4_S7_T0_T1_S9_S9_
		.amdhsa_group_segment_fixed_size 0
		.amdhsa_private_segment_fixed_size 0
		.amdhsa_kernarg_size 688
		.amdhsa_user_sgpr_count 2
		.amdhsa_user_sgpr_dispatch_ptr 0
		.amdhsa_user_sgpr_queue_ptr 0
		.amdhsa_user_sgpr_kernarg_segment_ptr 1
		.amdhsa_user_sgpr_dispatch_id 0
		.amdhsa_user_sgpr_kernarg_preload_length 0
		.amdhsa_user_sgpr_kernarg_preload_offset 0
		.amdhsa_user_sgpr_private_segment_size 0
		.amdhsa_uses_dynamic_stack 0
		.amdhsa_enable_private_segment 0
		.amdhsa_system_sgpr_workgroup_id_x 1
		.amdhsa_system_sgpr_workgroup_id_y 0
		.amdhsa_system_sgpr_workgroup_id_z 0
		.amdhsa_system_sgpr_workgroup_info 0
		.amdhsa_system_vgpr_workitem_id 0
		.amdhsa_next_free_vgpr 18
		.amdhsa_next_free_sgpr 74
		.amdhsa_accum_offset 20
		.amdhsa_reserve_vcc 1
		.amdhsa_float_round_mode_32 0
		.amdhsa_float_round_mode_16_64 0
		.amdhsa_float_denorm_mode_32 3
		.amdhsa_float_denorm_mode_16_64 3
		.amdhsa_dx10_clamp 1
		.amdhsa_ieee_mode 1
		.amdhsa_fp16_overflow 0
		.amdhsa_tg_split 0
		.amdhsa_exception_fp_ieee_invalid_op 0
		.amdhsa_exception_fp_denorm_src 0
		.amdhsa_exception_fp_ieee_div_zero 0
		.amdhsa_exception_fp_ieee_overflow 0
		.amdhsa_exception_fp_ieee_underflow 0
		.amdhsa_exception_fp_ieee_inexact 0
		.amdhsa_exception_int_div_zero 0
	.end_amdhsa_kernel
	.section	.text._ZN2at6native12cross_kernelIh16OffsetCalculatorILi3EjLb0EEiEEviPT_PKS4_S7_T0_T1_S9_S9_,"axG",@progbits,_ZN2at6native12cross_kernelIh16OffsetCalculatorILi3EjLb0EEiEEviPT_PKS4_S7_T0_T1_S9_S9_,comdat
.Lfunc_end1:
	.size	_ZN2at6native12cross_kernelIh16OffsetCalculatorILi3EjLb0EEiEEviPT_PKS4_S7_T0_T1_S9_S9_, .Lfunc_end1-_ZN2at6native12cross_kernelIh16OffsetCalculatorILi3EjLb0EEiEEviPT_PKS4_S7_T0_T1_S9_S9_
                                        ; -- End function
	.set _ZN2at6native12cross_kernelIh16OffsetCalculatorILi3EjLb0EEiEEviPT_PKS4_S7_T0_T1_S9_S9_.num_vgpr, 18
	.set _ZN2at6native12cross_kernelIh16OffsetCalculatorILi3EjLb0EEiEEviPT_PKS4_S7_T0_T1_S9_S9_.num_agpr, 0
	.set _ZN2at6native12cross_kernelIh16OffsetCalculatorILi3EjLb0EEiEEviPT_PKS4_S7_T0_T1_S9_S9_.numbered_sgpr, 74
	.set _ZN2at6native12cross_kernelIh16OffsetCalculatorILi3EjLb0EEiEEviPT_PKS4_S7_T0_T1_S9_S9_.num_named_barrier, 0
	.set _ZN2at6native12cross_kernelIh16OffsetCalculatorILi3EjLb0EEiEEviPT_PKS4_S7_T0_T1_S9_S9_.private_seg_size, 0
	.set _ZN2at6native12cross_kernelIh16OffsetCalculatorILi3EjLb0EEiEEviPT_PKS4_S7_T0_T1_S9_S9_.uses_vcc, 1
	.set _ZN2at6native12cross_kernelIh16OffsetCalculatorILi3EjLb0EEiEEviPT_PKS4_S7_T0_T1_S9_S9_.uses_flat_scratch, 0
	.set _ZN2at6native12cross_kernelIh16OffsetCalculatorILi3EjLb0EEiEEviPT_PKS4_S7_T0_T1_S9_S9_.has_dyn_sized_stack, 0
	.set _ZN2at6native12cross_kernelIh16OffsetCalculatorILi3EjLb0EEiEEviPT_PKS4_S7_T0_T1_S9_S9_.has_recursion, 0
	.set _ZN2at6native12cross_kernelIh16OffsetCalculatorILi3EjLb0EEiEEviPT_PKS4_S7_T0_T1_S9_S9_.has_indirect_call, 0
	.section	.AMDGPU.csdata,"",@progbits
; Kernel info:
; codeLenInByte = 1216
; TotalNumSgprs: 80
; NumVgprs: 18
; NumAgprs: 0
; TotalNumVgprs: 18
; ScratchSize: 0
; MemoryBound: 0
; FloatMode: 240
; IeeeMode: 1
; LDSByteSize: 0 bytes/workgroup (compile time only)
; SGPRBlocks: 9
; VGPRBlocks: 2
; NumSGPRsForWavesPerEU: 80
; NumVGPRsForWavesPerEU: 18
; AccumOffset: 20
; Occupancy: 8
; WaveLimiterHint : 1
; COMPUTE_PGM_RSRC2:SCRATCH_EN: 0
; COMPUTE_PGM_RSRC2:USER_SGPR: 2
; COMPUTE_PGM_RSRC2:TRAP_HANDLER: 0
; COMPUTE_PGM_RSRC2:TGID_X_EN: 1
; COMPUTE_PGM_RSRC2:TGID_Y_EN: 0
; COMPUTE_PGM_RSRC2:TGID_Z_EN: 0
; COMPUTE_PGM_RSRC2:TIDIG_COMP_CNT: 0
; COMPUTE_PGM_RSRC3_GFX90A:ACCUM_OFFSET: 4
; COMPUTE_PGM_RSRC3_GFX90A:TG_SPLIT: 0
	.section	.text._ZN2at6native12cross_kernelIa16OffsetCalculatorILi3EjLb0EElEEviPT_PKS4_S7_T0_T1_S9_S9_,"axG",@progbits,_ZN2at6native12cross_kernelIa16OffsetCalculatorILi3EjLb0EElEEviPT_PKS4_S7_T0_T1_S9_S9_,comdat
	.protected	_ZN2at6native12cross_kernelIa16OffsetCalculatorILi3EjLb0EElEEviPT_PKS4_S7_T0_T1_S9_S9_ ; -- Begin function _ZN2at6native12cross_kernelIa16OffsetCalculatorILi3EjLb0EElEEviPT_PKS4_S7_T0_T1_S9_S9_
	.globl	_ZN2at6native12cross_kernelIa16OffsetCalculatorILi3EjLb0EElEEviPT_PKS4_S7_T0_T1_S9_S9_
	.p2align	8
	.type	_ZN2at6native12cross_kernelIa16OffsetCalculatorILi3EjLb0EElEEviPT_PKS4_S7_T0_T1_S9_S9_,@function
_ZN2at6native12cross_kernelIa16OffsetCalculatorILi3EjLb0EElEEviPT_PKS4_S7_T0_T1_S9_S9_: ; @_ZN2at6native12cross_kernelIa16OffsetCalculatorILi3EjLb0EElEEviPT_PKS4_S7_T0_T1_S9_S9_
; %bb.0:
	s_load_dword s6, s[0:1], 0x0
	s_load_dword s3, s[0:1], 0x1cc
	v_mov_b32_e32 v1, 0
	v_mov_b32_e32 v2, s2
	s_waitcnt lgkmcnt(0)
	s_ashr_i32 s7, s6, 31
	s_add_u32 s4, s0, 0x1c0
	s_addc_u32 s5, s1, 0
	s_and_b32 s3, s3, 0xffff
	v_mad_u64_u32 v[2:3], s[8:9], s3, v2, v[0:1]
	v_cmp_gt_i64_e32 vcc, s[6:7], v[2:3]
	s_and_saveexec_b64 s[8:9], vcc
	s_cbranch_execz .LBB2_17
; %bb.1:
	s_load_dwordx4 s[36:39], s[0:1], 0x8
	s_load_dwordx2 s[34:35], s[0:1], 0x18
	s_load_dwordx8 s[8:15], s[0:1], 0x20
	s_load_dwordx2 s[56:57], s[0:1], 0x1b8
	s_load_dwordx4 s[40:43], s[0:1], 0x1a8
	s_load_dword s2, s[4:5], 0x0
	s_load_dwordx4 s[44:47], s[0:1], 0xe4
	s_load_dwordx2 s[62:63], s[0:1], 0xf4
	s_waitcnt lgkmcnt(0)
	v_sub_co_u32_e64 v0, s[4:5], s8, 1
	s_xor_b64 s[4:5], s[4:5], -1
	s_add_u32 s58, s0, 36
	v_readfirstlane_b32 s15, v0
	s_addc_u32 s59, s1, 0
	s_min_u32 s16, s15, 15
	s_cmp_gt_u32 s8, 1
	s_cselect_b64 s[64:65], -1, 0
	s_add_i32 s16, s16, 1
	v_cmp_lt_u32_e32 vcc, 1, v0
	s_mov_b32 s15, s45
	s_mov_b32 s8, s13
	s_lshl_b64 s[66:67], s[56:57], 1
	s_and_b32 s13, s16, 3
	s_and_b32 s45, s16, 28
	v_cndmask_b32_e64 v4, 0, 1, vcc
	v_cmp_ne_u32_e32 vcc, 2, v0
	s_cmp_lg_u32 s13, 0
	v_cndmask_b32_e64 v5, 0, 1, s[4:5]
	v_cndmask_b32_e64 v0, 0, 1, vcc
	s_mov_b32 s61, 0
	s_mov_b32 s33, s46
	s_mul_i32 s60, s2, s3
	s_mov_b64 s[68:69], 0
	s_cselect_b64 s[70:71], -1, 0
	v_cmp_ne_u32_e64 s[0:1], 1, v4
	v_cmp_ne_u32_e64 s[2:3], 1, v5
	;; [unrolled: 1-line block ×3, first 2 shown]
	s_branch .LBB2_3
.LBB2_2:                                ;   in Loop: Header=BB2_3 Depth=1
	v_mov_b32_e32 v5, v1
	v_mov_b32_e32 v7, v1
	v_lshl_add_u64 v[8:9], s[38:39], 0, v[4:5]
	v_lshl_add_u64 v[10:11], s[34:35], 0, v[6:7]
	;; [unrolled: 1-line block ×4, first 2 shown]
	global_load_ubyte v14, v[8:9], off
	v_lshl_add_u64 v[8:9], v[8:9], 0, s[42:43]
	global_load_ubyte v12, v[12:13], off
	v_lshl_add_u64 v[10:11], v[10:11], 0, s[56:57]
	global_load_ubyte v13, v4, s[38:39]
	global_load_ubyte v15, v[10:11], off
	global_load_ubyte v16, v6, s[34:35]
	global_load_ubyte v17, v[8:9], off
	v_lshl_add_u64 v[2:3], v[2:3], 0, s[60:61]
	v_lshl_add_u64 v[4:5], s[36:37], 0, v[0:1]
	v_cmp_le_i64_e32 vcc, s[6:7], v[2:3]
	v_lshl_add_u64 v[4:5], v[4:5], 0, s[40:41]
	s_or_b64 s[68:69], vcc, s[68:69]
	v_lshl_add_u64 v[6:7], v[4:5], 0, s[40:41]
	s_waitcnt vmcnt(2)
	v_mul_lo_u16_e32 v10, v13, v15
	v_mul_lo_u16_e32 v8, v12, v14
	;; [unrolled: 1-line block ×3, first 2 shown]
	s_waitcnt vmcnt(0)
	v_mul_lo_u16_e32 v12, v15, v17
	v_mul_lo_u16_e32 v11, v16, v14
	;; [unrolled: 1-line block ×3, first 2 shown]
	v_sub_u16_e32 v8, v8, v12
	v_sub_u16_e32 v10, v10, v11
	;; [unrolled: 1-line block ×3, first 2 shown]
	global_store_byte v0, v8, s[36:37]
	global_store_byte v[4:5], v9, off
	global_store_byte v[6:7], v10, off
	s_andn2_b64 exec, exec, s[68:69]
	s_cbranch_execz .LBB2_17
.LBB2_3:                                ; =>This Loop Header: Depth=1
                                        ;     Child Loop BB2_7 Depth 2
                                        ;     Child Loop BB2_11 Depth 2
	s_and_b64 vcc, exec, s[0:1]
	s_mov_b64 s[16:17], -1
                                        ; implicit-def: $vgpr6
                                        ; implicit-def: $vgpr4
	s_cbranch_vccnz .LBB2_14
; %bb.4:                                ;   in Loop: Header=BB2_3 Depth=1
	v_mov_b32_e32 v6, 0
	s_and_b64 vcc, exec, s[2:3]
	v_mov_b32_e32 v4, 0
	v_mov_b32_e32 v0, 0
	s_cbranch_vccnz .LBB2_13
; %bb.5:                                ;   in Loop: Header=BB2_3 Depth=1
	s_and_b64 vcc, exec, s[4:5]
	s_cbranch_vccnz .LBB2_9
; %bb.6:                                ;   in Loop: Header=BB2_3 Depth=1
	v_mov_b32_e32 v8, 0
	s_mov_b32 s46, 0
	s_mov_b64 s[72:73], s[58:59]
	v_mov_b32_e32 v0, v2
	v_mov_b32_e32 v4, 0
	;; [unrolled: 1-line block ×3, first 2 shown]
.LBB2_7:                                ;   Parent Loop BB2_3 Depth=1
                                        ; =>  This Inner Loop Header: Depth=2
	s_load_dwordx8 s[16:23], s[72:73], 0x0
	s_load_dwordx4 s[48:51], s[72:73], 0x20
	s_load_dwordx4 s[52:55], s[72:73], 0xe0
	s_load_dwordx8 s[24:31], s[72:73], 0xc0
	s_add_i32 s46, s46, 4
	s_waitcnt lgkmcnt(0)
	v_mul_hi_u32 v5, s17, v0
	v_add_u32_e32 v5, v0, v5
	v_lshrrev_b32_e32 v5, s18, v5
	v_mul_lo_u32 v7, v5, s16
	v_mul_hi_u32 v9, s20, v5
	v_sub_u32_e32 v0, v0, v7
	v_add_u32_e32 v7, v5, v9
	v_lshrrev_b32_e32 v7, s21, v7
	v_mul_lo_u32 v11, v7, s19
	v_mul_hi_u32 v12, s23, v7
	v_sub_u32_e32 v5, v5, v11
	v_add_u32_e32 v11, v7, v12
	v_mul_lo_u32 v9, v0, s24
	v_mul_lo_u32 v10, v0, s26
	;; [unrolled: 1-line block ×6, first 2 shown]
	v_lshrrev_b32_e32 v11, s48, v11
	v_add3_u32 v4, v0, v4, v5
	v_add3_u32 v5, v10, v6, v13
	v_mul_lo_u32 v0, v11, s22
	v_mul_hi_u32 v6, s50, v11
	v_sub_u32_e32 v0, v7, v0
	v_add_u32_e32 v6, v11, v6
	v_add3_u32 v8, v9, v8, v12
	v_mul_lo_u32 v7, v0, s30
	v_mul_lo_u32 v9, v0, s31
	;; [unrolled: 1-line block ×3, first 2 shown]
	v_lshrrev_b32_e32 v0, s51, v6
	v_mul_lo_u32 v6, v0, s49
	s_add_u32 s72, s72, 48
	v_sub_u32_e32 v6, v11, v6
	s_addc_u32 s73, s73, 0
	v_mul_lo_u32 v11, v6, s53
	v_mul_lo_u32 v12, v6, s54
	;; [unrolled: 1-line block ×3, first 2 shown]
	s_cmp_lg_u32 s45, s46
	v_add3_u32 v8, v7, v8, v11
	v_add3_u32 v6, v10, v5, v6
	;; [unrolled: 1-line block ×3, first 2 shown]
	s_cbranch_scc1 .LBB2_7
; %bb.8:                                ;   in Loop: Header=BB2_3 Depth=1
	v_mov_b32_e32 v5, v6
	s_mov_b32 s16, s45
	s_andn2_b64 vcc, exec, s[70:71]
	s_cbranch_vccz .LBB2_10
	s_branch .LBB2_12
.LBB2_9:                                ;   in Loop: Header=BB2_3 Depth=1
	v_mov_b32_e32 v0, v1
	s_mov_b32 s16, 0
	v_mov_b32_e32 v8, 0
                                        ; implicit-def: $vgpr6
	v_mov_b64_e32 v[4:5], v[0:1]
	v_mov_b32_e32 v0, v2
	s_andn2_b64 vcc, exec, s[70:71]
	s_cbranch_vccnz .LBB2_12
.LBB2_10:                               ;   in Loop: Header=BB2_3 Depth=1
	s_mul_i32 s16, s16, 12
	s_add_u32 s16, s58, s16
	s_addc_u32 s17, s59, 0
	s_mov_b32 s18, s13
.LBB2_11:                               ;   Parent Loop BB2_3 Depth=1
                                        ; =>  This Inner Loop Header: Depth=2
	s_load_dwordx2 s[20:21], s[16:17], 0x0
	s_load_dword s19, s[16:17], 0x8
	s_load_dwordx2 s[22:23], s[16:17], 0xc0
	s_load_dword s24, s[16:17], 0xc8
	v_mov_b32_e32 v6, v5
	s_waitcnt lgkmcnt(0)
	v_mul_hi_u32 v7, s21, v0
	v_add_u32_e32 v7, v0, v7
	v_lshrrev_b32_e32 v7, s19, v7
	v_mul_lo_u32 v9, v7, s20
	s_add_u32 s16, s16, 12
	v_sub_u32_e32 v10, v0, v9
	s_addc_u32 s17, s17, 0
	s_add_i32 s18, s18, -1
	v_mov_b32_e32 v0, v7
	v_mad_u64_u32 v[6:7], s[20:21], v10, s24, v[6:7]
	v_mad_u64_u32 v[4:5], s[20:21], v10, s23, v[4:5]
	s_cmp_lg_u32 s18, 0
	v_mad_u64_u32 v[8:9], s[20:21], v10, s22, v[8:9]
	v_mov_b32_e32 v5, v6
	s_cbranch_scc1 .LBB2_11
.LBB2_12:                               ;   in Loop: Header=BB2_3 Depth=1
	v_mov_b32_e32 v0, v8
.LBB2_13:                               ;   in Loop: Header=BB2_3 Depth=1
	s_mov_b64 s[16:17], 0
.LBB2_14:                               ;   in Loop: Header=BB2_3 Depth=1
	s_andn2_b64 vcc, exec, s[16:17]
	s_cbranch_vccnz .LBB2_2
; %bb.15:                               ;   in Loop: Header=BB2_3 Depth=1
	v_mul_lo_u32 v0, v3, s10
	v_mul_hi_u32 v4, v2, s10
	v_add3_u32 v0, v4, v0, v2
	v_lshrrev_b32_e32 v5, s11, v0
	v_mul_lo_u32 v0, v5, s9
	v_sub_u32_e32 v4, v2, v0
	v_mul_lo_u32 v0, v4, s44
	v_mul_lo_u32 v6, v4, s33
	s_andn2_b64 vcc, exec, s[64:65]
	v_mul_lo_u32 v4, v4, s15
	s_cbranch_vccnz .LBB2_2
; %bb.16:                               ;   in Loop: Header=BB2_3 Depth=1
	v_mul_hi_u32 v7, s8, v5
	v_add_u32_e32 v7, v5, v7
	v_lshrrev_b32_e32 v7, s14, v7
	v_mul_lo_u32 v7, v7, s12
	v_sub_u32_e32 v7, v5, v7
	v_mad_u64_u32 v[8:9], s[16:17], v7, s47, v[0:1]
	v_mad_u64_u32 v[4:5], s[16:17], v7, s62, v[4:5]
	;; [unrolled: 1-line block ×3, first 2 shown]
	v_mov_b32_e32 v0, v8
	s_branch .LBB2_2
.LBB2_17:
	s_endpgm
	.section	.rodata,"a",@progbits
	.p2align	6, 0x0
	.amdhsa_kernel _ZN2at6native12cross_kernelIa16OffsetCalculatorILi3EjLb0EElEEviPT_PKS4_S7_T0_T1_S9_S9_
		.amdhsa_group_segment_fixed_size 0
		.amdhsa_private_segment_fixed_size 0
		.amdhsa_kernarg_size 704
		.amdhsa_user_sgpr_count 2
		.amdhsa_user_sgpr_dispatch_ptr 0
		.amdhsa_user_sgpr_queue_ptr 0
		.amdhsa_user_sgpr_kernarg_segment_ptr 1
		.amdhsa_user_sgpr_dispatch_id 0
		.amdhsa_user_sgpr_kernarg_preload_length 0
		.amdhsa_user_sgpr_kernarg_preload_offset 0
		.amdhsa_user_sgpr_private_segment_size 0
		.amdhsa_uses_dynamic_stack 0
		.amdhsa_enable_private_segment 0
		.amdhsa_system_sgpr_workgroup_id_x 1
		.amdhsa_system_sgpr_workgroup_id_y 0
		.amdhsa_system_sgpr_workgroup_id_z 0
		.amdhsa_system_sgpr_workgroup_info 0
		.amdhsa_system_vgpr_workitem_id 0
		.amdhsa_next_free_vgpr 18
		.amdhsa_next_free_sgpr 74
		.amdhsa_accum_offset 20
		.amdhsa_reserve_vcc 1
		.amdhsa_float_round_mode_32 0
		.amdhsa_float_round_mode_16_64 0
		.amdhsa_float_denorm_mode_32 3
		.amdhsa_float_denorm_mode_16_64 3
		.amdhsa_dx10_clamp 1
		.amdhsa_ieee_mode 1
		.amdhsa_fp16_overflow 0
		.amdhsa_tg_split 0
		.amdhsa_exception_fp_ieee_invalid_op 0
		.amdhsa_exception_fp_denorm_src 0
		.amdhsa_exception_fp_ieee_div_zero 0
		.amdhsa_exception_fp_ieee_overflow 0
		.amdhsa_exception_fp_ieee_underflow 0
		.amdhsa_exception_fp_ieee_inexact 0
		.amdhsa_exception_int_div_zero 0
	.end_amdhsa_kernel
	.section	.text._ZN2at6native12cross_kernelIa16OffsetCalculatorILi3EjLb0EElEEviPT_PKS4_S7_T0_T1_S9_S9_,"axG",@progbits,_ZN2at6native12cross_kernelIa16OffsetCalculatorILi3EjLb0EElEEviPT_PKS4_S7_T0_T1_S9_S9_,comdat
.Lfunc_end2:
	.size	_ZN2at6native12cross_kernelIa16OffsetCalculatorILi3EjLb0EElEEviPT_PKS4_S7_T0_T1_S9_S9_, .Lfunc_end2-_ZN2at6native12cross_kernelIa16OffsetCalculatorILi3EjLb0EElEEviPT_PKS4_S7_T0_T1_S9_S9_
                                        ; -- End function
	.set _ZN2at6native12cross_kernelIa16OffsetCalculatorILi3EjLb0EElEEviPT_PKS4_S7_T0_T1_S9_S9_.num_vgpr, 18
	.set _ZN2at6native12cross_kernelIa16OffsetCalculatorILi3EjLb0EElEEviPT_PKS4_S7_T0_T1_S9_S9_.num_agpr, 0
	.set _ZN2at6native12cross_kernelIa16OffsetCalculatorILi3EjLb0EElEEviPT_PKS4_S7_T0_T1_S9_S9_.numbered_sgpr, 74
	.set _ZN2at6native12cross_kernelIa16OffsetCalculatorILi3EjLb0EElEEviPT_PKS4_S7_T0_T1_S9_S9_.num_named_barrier, 0
	.set _ZN2at6native12cross_kernelIa16OffsetCalculatorILi3EjLb0EElEEviPT_PKS4_S7_T0_T1_S9_S9_.private_seg_size, 0
	.set _ZN2at6native12cross_kernelIa16OffsetCalculatorILi3EjLb0EElEEviPT_PKS4_S7_T0_T1_S9_S9_.uses_vcc, 1
	.set _ZN2at6native12cross_kernelIa16OffsetCalculatorILi3EjLb0EElEEviPT_PKS4_S7_T0_T1_S9_S9_.uses_flat_scratch, 0
	.set _ZN2at6native12cross_kernelIa16OffsetCalculatorILi3EjLb0EElEEviPT_PKS4_S7_T0_T1_S9_S9_.has_dyn_sized_stack, 0
	.set _ZN2at6native12cross_kernelIa16OffsetCalculatorILi3EjLb0EElEEviPT_PKS4_S7_T0_T1_S9_S9_.has_recursion, 0
	.set _ZN2at6native12cross_kernelIa16OffsetCalculatorILi3EjLb0EElEEviPT_PKS4_S7_T0_T1_S9_S9_.has_indirect_call, 0
	.section	.AMDGPU.csdata,"",@progbits
; Kernel info:
; codeLenInByte = 1216
; TotalNumSgprs: 80
; NumVgprs: 18
; NumAgprs: 0
; TotalNumVgprs: 18
; ScratchSize: 0
; MemoryBound: 0
; FloatMode: 240
; IeeeMode: 1
; LDSByteSize: 0 bytes/workgroup (compile time only)
; SGPRBlocks: 9
; VGPRBlocks: 2
; NumSGPRsForWavesPerEU: 80
; NumVGPRsForWavesPerEU: 18
; AccumOffset: 20
; Occupancy: 8
; WaveLimiterHint : 1
; COMPUTE_PGM_RSRC2:SCRATCH_EN: 0
; COMPUTE_PGM_RSRC2:USER_SGPR: 2
; COMPUTE_PGM_RSRC2:TRAP_HANDLER: 0
; COMPUTE_PGM_RSRC2:TGID_X_EN: 1
; COMPUTE_PGM_RSRC2:TGID_Y_EN: 0
; COMPUTE_PGM_RSRC2:TGID_Z_EN: 0
; COMPUTE_PGM_RSRC2:TIDIG_COMP_CNT: 0
; COMPUTE_PGM_RSRC3_GFX90A:ACCUM_OFFSET: 4
; COMPUTE_PGM_RSRC3_GFX90A:TG_SPLIT: 0
	.section	.text._ZN2at6native12cross_kernelIa16OffsetCalculatorILi3EjLb0EEiEEviPT_PKS4_S7_T0_T1_S9_S9_,"axG",@progbits,_ZN2at6native12cross_kernelIa16OffsetCalculatorILi3EjLb0EEiEEviPT_PKS4_S7_T0_T1_S9_S9_,comdat
	.protected	_ZN2at6native12cross_kernelIa16OffsetCalculatorILi3EjLb0EEiEEviPT_PKS4_S7_T0_T1_S9_S9_ ; -- Begin function _ZN2at6native12cross_kernelIa16OffsetCalculatorILi3EjLb0EEiEEviPT_PKS4_S7_T0_T1_S9_S9_
	.globl	_ZN2at6native12cross_kernelIa16OffsetCalculatorILi3EjLb0EEiEEviPT_PKS4_S7_T0_T1_S9_S9_
	.p2align	8
	.type	_ZN2at6native12cross_kernelIa16OffsetCalculatorILi3EjLb0EEiEEviPT_PKS4_S7_T0_T1_S9_S9_,@function
_ZN2at6native12cross_kernelIa16OffsetCalculatorILi3EjLb0EEiEEviPT_PKS4_S7_T0_T1_S9_S9_: ; @_ZN2at6native12cross_kernelIa16OffsetCalculatorILi3EjLb0EEiEEviPT_PKS4_S7_T0_T1_S9_S9_
; %bb.0:
	s_load_dword s6, s[0:1], 0x0
	s_load_dword s3, s[0:1], 0x1bc
	v_mov_b32_e32 v1, 0
	v_mov_b32_e32 v2, s2
	s_waitcnt lgkmcnt(0)
	s_ashr_i32 s7, s6, 31
	s_add_u32 s4, s0, 0x1b0
	s_addc_u32 s5, s1, 0
	s_and_b32 s3, s3, 0xffff
	v_mad_u64_u32 v[2:3], s[8:9], s3, v2, v[0:1]
	v_cmp_gt_i64_e32 vcc, s[6:7], v[2:3]
	s_and_saveexec_b64 s[8:9], vcc
	s_cbranch_execz .LBB3_17
; %bb.1:
	s_load_dwordx4 s[36:39], s[0:1], 0x1a4
	s_load_dwordx8 s[8:15], s[0:1], 0x20
	s_load_dwordx4 s[40:43], s[0:1], 0x8
	s_load_dwordx2 s[34:35], s[0:1], 0x18
	s_load_dword s2, s[4:5], 0x0
	s_load_dwordx4 s[44:47], s[0:1], 0xe4
	s_load_dwordx2 s[62:63], s[0:1], 0xf4
	s_waitcnt lgkmcnt(0)
	v_sub_co_u32_e64 v0, s[4:5], s8, 1
	s_xor_b64 s[4:5], s[4:5], -1
	s_add_u32 s58, s0, 36
	v_readfirstlane_b32 s15, v0
	s_addc_u32 s59, s1, 0
	s_min_u32 s16, s15, 15
	s_cmp_gt_u32 s8, 1
	s_cselect_b64 s[64:65], -1, 0
	s_lshl_b32 s66, s38, 1
	s_add_i32 s16, s16, 1
	s_mov_b32 s56, s37
	s_mov_b32 s15, s45
	;; [unrolled: 1-line block ×3, first 2 shown]
	s_ashr_i32 s57, s37, 31
	s_ashr_i32 s67, s66, 31
	;; [unrolled: 1-line block ×4, first 2 shown]
	s_and_b32 s13, s16, 3
	s_and_b32 s45, s16, 28
	v_cmp_lt_u32_e32 vcc, 1, v0
	s_cmp_lg_u32 s13, 0
	v_cndmask_b32_e64 v5, 0, 1, s[4:5]
	v_cndmask_b32_e64 v4, 0, 1, vcc
	s_mov_b32 s61, 0
	s_mov_b32 s33, s46
	s_mul_i32 s60, s2, s3
	s_mov_b64 s[68:69], 0
	v_cmp_ne_u32_e64 s[0:1], 2, v0
	s_cselect_b64 s[70:71], -1, 0
	v_cmp_ne_u32_e64 s[2:3], 1, v4
	v_cmp_ne_u32_e64 s[4:5], 1, v5
	s_branch .LBB3_3
.LBB3_2:                                ;   in Loop: Header=BB3_3 Depth=1
	v_mov_b32_e32 v5, v1
	v_mov_b32_e32 v7, v1
	v_lshl_add_u64 v[8:9], s[42:43], 0, v[4:5]
	v_lshl_add_u64 v[10:11], s[34:35], 0, v[6:7]
	;; [unrolled: 1-line block ×4, first 2 shown]
	global_load_ubyte v14, v[8:9], off
	v_lshl_add_u64 v[8:9], v[8:9], 0, s[56:57]
	global_load_ubyte v12, v[12:13], off
	v_lshl_add_u64 v[10:11], v[10:11], 0, s[38:39]
	global_load_ubyte v13, v4, s[42:43]
	global_load_ubyte v15, v[10:11], off
	global_load_ubyte v16, v6, s[34:35]
	global_load_ubyte v17, v[8:9], off
	v_lshl_add_u64 v[2:3], v[2:3], 0, s[60:61]
	v_lshl_add_u64 v[4:5], s[40:41], 0, v[0:1]
	v_cmp_le_i64_e32 vcc, s[6:7], v[2:3]
	v_lshl_add_u64 v[4:5], v[4:5], 0, s[36:37]
	s_or_b64 s[68:69], vcc, s[68:69]
	v_lshl_add_u64 v[6:7], v[4:5], 0, s[36:37]
	s_waitcnt vmcnt(2)
	v_mul_lo_u16_e32 v10, v13, v15
	v_mul_lo_u16_e32 v8, v12, v14
	;; [unrolled: 1-line block ×3, first 2 shown]
	s_waitcnt vmcnt(0)
	v_mul_lo_u16_e32 v12, v15, v17
	v_mul_lo_u16_e32 v11, v16, v14
	;; [unrolled: 1-line block ×3, first 2 shown]
	v_sub_u16_e32 v8, v8, v12
	v_sub_u16_e32 v10, v10, v11
	v_sub_u16_e32 v9, v13, v9
	global_store_byte v0, v8, s[40:41]
	global_store_byte v[4:5], v9, off
	global_store_byte v[6:7], v10, off
	s_andn2_b64 exec, exec, s[68:69]
	s_cbranch_execz .LBB3_17
.LBB3_3:                                ; =>This Loop Header: Depth=1
                                        ;     Child Loop BB3_7 Depth 2
                                        ;     Child Loop BB3_11 Depth 2
	s_and_b64 vcc, exec, s[2:3]
	s_mov_b64 s[16:17], -1
                                        ; implicit-def: $vgpr6
                                        ; implicit-def: $vgpr4
	s_cbranch_vccnz .LBB3_14
; %bb.4:                                ;   in Loop: Header=BB3_3 Depth=1
	v_mov_b32_e32 v6, 0
	s_and_b64 vcc, exec, s[4:5]
	v_mov_b32_e32 v4, 0
	v_mov_b32_e32 v0, 0
	s_cbranch_vccnz .LBB3_13
; %bb.5:                                ;   in Loop: Header=BB3_3 Depth=1
	s_andn2_b64 vcc, exec, s[0:1]
	s_cbranch_vccnz .LBB3_9
; %bb.6:                                ;   in Loop: Header=BB3_3 Depth=1
	v_mov_b32_e32 v8, 0
	s_mov_b32 s46, 0
	s_mov_b64 s[72:73], s[58:59]
	v_mov_b32_e32 v0, v2
	v_mov_b32_e32 v4, 0
	;; [unrolled: 1-line block ×3, first 2 shown]
.LBB3_7:                                ;   Parent Loop BB3_3 Depth=1
                                        ; =>  This Inner Loop Header: Depth=2
	s_load_dwordx8 s[16:23], s[72:73], 0x0
	s_load_dwordx4 s[48:51], s[72:73], 0x20
	s_load_dwordx4 s[52:55], s[72:73], 0xe0
	s_load_dwordx8 s[24:31], s[72:73], 0xc0
	s_add_i32 s46, s46, 4
	s_waitcnt lgkmcnt(0)
	v_mul_hi_u32 v5, s17, v0
	v_add_u32_e32 v5, v0, v5
	v_lshrrev_b32_e32 v5, s18, v5
	v_mul_lo_u32 v7, v5, s16
	v_mul_hi_u32 v9, s20, v5
	v_sub_u32_e32 v0, v0, v7
	v_add_u32_e32 v7, v5, v9
	v_lshrrev_b32_e32 v7, s21, v7
	v_mul_lo_u32 v11, v7, s19
	v_mul_hi_u32 v12, s23, v7
	v_sub_u32_e32 v5, v5, v11
	v_add_u32_e32 v11, v7, v12
	v_mul_lo_u32 v9, v0, s24
	v_mul_lo_u32 v10, v0, s26
	;; [unrolled: 1-line block ×6, first 2 shown]
	v_lshrrev_b32_e32 v11, s48, v11
	v_add3_u32 v4, v0, v4, v5
	v_add3_u32 v5, v10, v6, v13
	v_mul_lo_u32 v0, v11, s22
	v_mul_hi_u32 v6, s50, v11
	v_sub_u32_e32 v0, v7, v0
	v_add_u32_e32 v6, v11, v6
	v_add3_u32 v8, v9, v8, v12
	v_mul_lo_u32 v7, v0, s30
	v_mul_lo_u32 v9, v0, s31
	v_mul_lo_u32 v10, v0, s52
	v_lshrrev_b32_e32 v0, s51, v6
	v_mul_lo_u32 v6, v0, s49
	s_add_u32 s72, s72, 48
	v_sub_u32_e32 v6, v11, v6
	s_addc_u32 s73, s73, 0
	v_mul_lo_u32 v11, v6, s53
	v_mul_lo_u32 v12, v6, s54
	;; [unrolled: 1-line block ×3, first 2 shown]
	s_cmp_lg_u32 s45, s46
	v_add3_u32 v8, v7, v8, v11
	v_add3_u32 v6, v10, v5, v6
	;; [unrolled: 1-line block ×3, first 2 shown]
	s_cbranch_scc1 .LBB3_7
; %bb.8:                                ;   in Loop: Header=BB3_3 Depth=1
	v_mov_b32_e32 v5, v6
	s_mov_b32 s16, s45
	s_andn2_b64 vcc, exec, s[70:71]
	s_cbranch_vccz .LBB3_10
	s_branch .LBB3_12
.LBB3_9:                                ;   in Loop: Header=BB3_3 Depth=1
	v_mov_b32_e32 v0, v1
	s_mov_b32 s16, 0
	v_mov_b32_e32 v8, 0
                                        ; implicit-def: $vgpr6
	v_mov_b64_e32 v[4:5], v[0:1]
	v_mov_b32_e32 v0, v2
	s_andn2_b64 vcc, exec, s[70:71]
	s_cbranch_vccnz .LBB3_12
.LBB3_10:                               ;   in Loop: Header=BB3_3 Depth=1
	s_mul_i32 s16, s16, 12
	s_add_u32 s16, s58, s16
	s_addc_u32 s17, s59, 0
	s_mov_b32 s18, s13
.LBB3_11:                               ;   Parent Loop BB3_3 Depth=1
                                        ; =>  This Inner Loop Header: Depth=2
	s_load_dwordx2 s[20:21], s[16:17], 0x0
	s_load_dword s19, s[16:17], 0x8
	s_load_dwordx2 s[22:23], s[16:17], 0xc0
	s_load_dword s24, s[16:17], 0xc8
	v_mov_b32_e32 v6, v5
	s_waitcnt lgkmcnt(0)
	v_mul_hi_u32 v7, s21, v0
	v_add_u32_e32 v7, v0, v7
	v_lshrrev_b32_e32 v7, s19, v7
	v_mul_lo_u32 v9, v7, s20
	s_add_u32 s16, s16, 12
	v_sub_u32_e32 v10, v0, v9
	s_addc_u32 s17, s17, 0
	s_add_i32 s18, s18, -1
	v_mov_b32_e32 v0, v7
	v_mad_u64_u32 v[6:7], s[20:21], v10, s24, v[6:7]
	v_mad_u64_u32 v[4:5], s[20:21], v10, s23, v[4:5]
	s_cmp_lg_u32 s18, 0
	v_mad_u64_u32 v[8:9], s[20:21], v10, s22, v[8:9]
	v_mov_b32_e32 v5, v6
	s_cbranch_scc1 .LBB3_11
.LBB3_12:                               ;   in Loop: Header=BB3_3 Depth=1
	v_mov_b32_e32 v0, v8
.LBB3_13:                               ;   in Loop: Header=BB3_3 Depth=1
	s_mov_b64 s[16:17], 0
.LBB3_14:                               ;   in Loop: Header=BB3_3 Depth=1
	s_andn2_b64 vcc, exec, s[16:17]
	s_cbranch_vccnz .LBB3_2
; %bb.15:                               ;   in Loop: Header=BB3_3 Depth=1
	v_mul_lo_u32 v0, v3, s10
	v_mul_hi_u32 v4, v2, s10
	v_add3_u32 v0, v4, v0, v2
	v_lshrrev_b32_e32 v5, s11, v0
	v_mul_lo_u32 v0, v5, s9
	v_sub_u32_e32 v4, v2, v0
	v_mul_lo_u32 v0, v4, s44
	v_mul_lo_u32 v6, v4, s33
	s_andn2_b64 vcc, exec, s[64:65]
	v_mul_lo_u32 v4, v4, s15
	s_cbranch_vccnz .LBB3_2
; %bb.16:                               ;   in Loop: Header=BB3_3 Depth=1
	v_mul_hi_u32 v7, s8, v5
	v_add_u32_e32 v7, v5, v7
	v_lshrrev_b32_e32 v7, s14, v7
	v_mul_lo_u32 v7, v7, s12
	v_sub_u32_e32 v7, v5, v7
	v_mad_u64_u32 v[8:9], s[16:17], v7, s47, v[0:1]
	v_mad_u64_u32 v[4:5], s[16:17], v7, s62, v[4:5]
	;; [unrolled: 1-line block ×3, first 2 shown]
	v_mov_b32_e32 v0, v8
	s_branch .LBB3_2
.LBB3_17:
	s_endpgm
	.section	.rodata,"a",@progbits
	.p2align	6, 0x0
	.amdhsa_kernel _ZN2at6native12cross_kernelIa16OffsetCalculatorILi3EjLb0EEiEEviPT_PKS4_S7_T0_T1_S9_S9_
		.amdhsa_group_segment_fixed_size 0
		.amdhsa_private_segment_fixed_size 0
		.amdhsa_kernarg_size 688
		.amdhsa_user_sgpr_count 2
		.amdhsa_user_sgpr_dispatch_ptr 0
		.amdhsa_user_sgpr_queue_ptr 0
		.amdhsa_user_sgpr_kernarg_segment_ptr 1
		.amdhsa_user_sgpr_dispatch_id 0
		.amdhsa_user_sgpr_kernarg_preload_length 0
		.amdhsa_user_sgpr_kernarg_preload_offset 0
		.amdhsa_user_sgpr_private_segment_size 0
		.amdhsa_uses_dynamic_stack 0
		.amdhsa_enable_private_segment 0
		.amdhsa_system_sgpr_workgroup_id_x 1
		.amdhsa_system_sgpr_workgroup_id_y 0
		.amdhsa_system_sgpr_workgroup_id_z 0
		.amdhsa_system_sgpr_workgroup_info 0
		.amdhsa_system_vgpr_workitem_id 0
		.amdhsa_next_free_vgpr 18
		.amdhsa_next_free_sgpr 74
		.amdhsa_accum_offset 20
		.amdhsa_reserve_vcc 1
		.amdhsa_float_round_mode_32 0
		.amdhsa_float_round_mode_16_64 0
		.amdhsa_float_denorm_mode_32 3
		.amdhsa_float_denorm_mode_16_64 3
		.amdhsa_dx10_clamp 1
		.amdhsa_ieee_mode 1
		.amdhsa_fp16_overflow 0
		.amdhsa_tg_split 0
		.amdhsa_exception_fp_ieee_invalid_op 0
		.amdhsa_exception_fp_denorm_src 0
		.amdhsa_exception_fp_ieee_div_zero 0
		.amdhsa_exception_fp_ieee_overflow 0
		.amdhsa_exception_fp_ieee_underflow 0
		.amdhsa_exception_fp_ieee_inexact 0
		.amdhsa_exception_int_div_zero 0
	.end_amdhsa_kernel
	.section	.text._ZN2at6native12cross_kernelIa16OffsetCalculatorILi3EjLb0EEiEEviPT_PKS4_S7_T0_T1_S9_S9_,"axG",@progbits,_ZN2at6native12cross_kernelIa16OffsetCalculatorILi3EjLb0EEiEEviPT_PKS4_S7_T0_T1_S9_S9_,comdat
.Lfunc_end3:
	.size	_ZN2at6native12cross_kernelIa16OffsetCalculatorILi3EjLb0EEiEEviPT_PKS4_S7_T0_T1_S9_S9_, .Lfunc_end3-_ZN2at6native12cross_kernelIa16OffsetCalculatorILi3EjLb0EEiEEviPT_PKS4_S7_T0_T1_S9_S9_
                                        ; -- End function
	.set _ZN2at6native12cross_kernelIa16OffsetCalculatorILi3EjLb0EEiEEviPT_PKS4_S7_T0_T1_S9_S9_.num_vgpr, 18
	.set _ZN2at6native12cross_kernelIa16OffsetCalculatorILi3EjLb0EEiEEviPT_PKS4_S7_T0_T1_S9_S9_.num_agpr, 0
	.set _ZN2at6native12cross_kernelIa16OffsetCalculatorILi3EjLb0EEiEEviPT_PKS4_S7_T0_T1_S9_S9_.numbered_sgpr, 74
	.set _ZN2at6native12cross_kernelIa16OffsetCalculatorILi3EjLb0EEiEEviPT_PKS4_S7_T0_T1_S9_S9_.num_named_barrier, 0
	.set _ZN2at6native12cross_kernelIa16OffsetCalculatorILi3EjLb0EEiEEviPT_PKS4_S7_T0_T1_S9_S9_.private_seg_size, 0
	.set _ZN2at6native12cross_kernelIa16OffsetCalculatorILi3EjLb0EEiEEviPT_PKS4_S7_T0_T1_S9_S9_.uses_vcc, 1
	.set _ZN2at6native12cross_kernelIa16OffsetCalculatorILi3EjLb0EEiEEviPT_PKS4_S7_T0_T1_S9_S9_.uses_flat_scratch, 0
	.set _ZN2at6native12cross_kernelIa16OffsetCalculatorILi3EjLb0EEiEEviPT_PKS4_S7_T0_T1_S9_S9_.has_dyn_sized_stack, 0
	.set _ZN2at6native12cross_kernelIa16OffsetCalculatorILi3EjLb0EEiEEviPT_PKS4_S7_T0_T1_S9_S9_.has_recursion, 0
	.set _ZN2at6native12cross_kernelIa16OffsetCalculatorILi3EjLb0EEiEEviPT_PKS4_S7_T0_T1_S9_S9_.has_indirect_call, 0
	.section	.AMDGPU.csdata,"",@progbits
; Kernel info:
; codeLenInByte = 1216
; TotalNumSgprs: 80
; NumVgprs: 18
; NumAgprs: 0
; TotalNumVgprs: 18
; ScratchSize: 0
; MemoryBound: 0
; FloatMode: 240
; IeeeMode: 1
; LDSByteSize: 0 bytes/workgroup (compile time only)
; SGPRBlocks: 9
; VGPRBlocks: 2
; NumSGPRsForWavesPerEU: 80
; NumVGPRsForWavesPerEU: 18
; AccumOffset: 20
; Occupancy: 8
; WaveLimiterHint : 1
; COMPUTE_PGM_RSRC2:SCRATCH_EN: 0
; COMPUTE_PGM_RSRC2:USER_SGPR: 2
; COMPUTE_PGM_RSRC2:TRAP_HANDLER: 0
; COMPUTE_PGM_RSRC2:TGID_X_EN: 1
; COMPUTE_PGM_RSRC2:TGID_Y_EN: 0
; COMPUTE_PGM_RSRC2:TGID_Z_EN: 0
; COMPUTE_PGM_RSRC2:TIDIG_COMP_CNT: 0
; COMPUTE_PGM_RSRC3_GFX90A:ACCUM_OFFSET: 4
; COMPUTE_PGM_RSRC3_GFX90A:TG_SPLIT: 0
	.section	.text._ZN2at6native12cross_kernelIi16OffsetCalculatorILi3EjLb0EElEEviPT_PKS4_S7_T0_T1_S9_S9_,"axG",@progbits,_ZN2at6native12cross_kernelIi16OffsetCalculatorILi3EjLb0EElEEviPT_PKS4_S7_T0_T1_S9_S9_,comdat
	.protected	_ZN2at6native12cross_kernelIi16OffsetCalculatorILi3EjLb0EElEEviPT_PKS4_S7_T0_T1_S9_S9_ ; -- Begin function _ZN2at6native12cross_kernelIi16OffsetCalculatorILi3EjLb0EElEEviPT_PKS4_S7_T0_T1_S9_S9_
	.globl	_ZN2at6native12cross_kernelIi16OffsetCalculatorILi3EjLb0EElEEviPT_PKS4_S7_T0_T1_S9_S9_
	.p2align	8
	.type	_ZN2at6native12cross_kernelIi16OffsetCalculatorILi3EjLb0EElEEviPT_PKS4_S7_T0_T1_S9_S9_,@function
_ZN2at6native12cross_kernelIi16OffsetCalculatorILi3EjLb0EElEEviPT_PKS4_S7_T0_T1_S9_S9_: ; @_ZN2at6native12cross_kernelIi16OffsetCalculatorILi3EjLb0EElEEviPT_PKS4_S7_T0_T1_S9_S9_
; %bb.0:
	s_load_dword s34, s[0:1], 0x0
	s_load_dword s3, s[0:1], 0x1cc
	v_mov_b32_e32 v1, 0
	v_mov_b32_e32 v2, s2
	s_waitcnt lgkmcnt(0)
	s_ashr_i32 s35, s34, 31
	s_add_u32 s12, s0, 0x1c0
	s_addc_u32 s13, s1, 0
	s_and_b32 s3, s3, 0xffff
	v_mad_u64_u32 v[2:3], s[4:5], s3, v2, v[0:1]
	v_cmp_gt_i64_e32 vcc, s[34:35], v[2:3]
	s_and_saveexec_b64 s[4:5], vcc
	s_cbranch_execz .LBB4_17
; %bb.1:
	s_load_dwordx4 s[28:31], s[0:1], 0x8
	s_load_dwordx2 s[52:53], s[0:1], 0x18
	s_load_dwordx8 s[4:11], s[0:1], 0x20
	s_load_dwordx2 s[14:15], s[0:1], 0x1b8
	s_load_dwordx4 s[36:39], s[0:1], 0x1a8
	s_load_dword s2, s[12:13], 0x0
	s_load_dwordx4 s[40:43], s[0:1], 0xe4
	s_load_dwordx2 s[60:61], s[0:1], 0xf4
	s_waitcnt lgkmcnt(0)
	v_sub_co_u32_e64 v0, s[12:13], s4, 1
	s_xor_b64 s[54:55], s[12:13], -1
	s_add_u32 s56, s0, 36
	v_readfirstlane_b32 s11, v0
	s_addc_u32 s57, s1, 0
	s_min_u32 s12, s11, 15
	s_cmp_gt_u32 s4, 1
	s_cselect_b64 s[62:63], -1, 0
	s_add_i32 s12, s12, 1
	s_mov_b32 s11, s41
	s_mov_b32 s4, s9
	s_lshl_b64 s[64:65], s[14:15], 3
	s_and_b32 s9, s12, 3
	s_and_b32 s41, s12, 28
	s_cmp_lg_u32 s9, 0
	s_cselect_b64 s[66:67], -1, 0
	s_lshl_b64 s[68:69], s[38:39], 2
	s_lshl_b64 s[0:1], s[14:15], 2
	s_sub_u32 s72, 0, s0
	s_mov_b32 s59, 0
	s_mov_b32 s33, s42
	s_mul_i32 s58, s2, s3
	s_mov_b64 s[70:71], 0
	s_subb_u32 s73, 0, s1
	s_lshl_b64 s[74:75], s[36:37], 2
	v_cmp_lt_u32_e64 s[0:1], 1, v0
	v_cmp_ne_u32_e64 s[2:3], 2, v0
	s_branch .LBB4_3
.LBB4_2:                                ;   in Loop: Header=BB4_3 Depth=1
	v_mov_b32_e32 v5, v1
	v_lshl_add_u64 v[4:5], v[4:5], 2, s[30:31]
	v_mov_b32_e32 v7, v1
	v_lshl_add_u64 v[6:7], v[6:7], 2, s[52:53]
	v_lshl_add_u64 v[8:9], s[38:39], 2, v[4:5]
	global_load_dword v12, v[8:9], off
	v_lshl_add_u64 v[10:11], v[6:7], 0, s[64:65]
	v_lshl_add_u64 v[8:9], v[8:9], 0, s[68:69]
	global_load_dword v13, v[10:11], off
	global_load_dword v14, v[8:9], off
	v_lshl_add_u64 v[8:9], v[10:11], 0, s[72:73]
	global_load_dword v10, v[4:5], off
	global_load_dword v11, v[6:7], off
	;; [unrolled: 1-line block ×3, first 2 shown]
	v_lshl_add_u64 v[2:3], v[2:3], 0, s[58:59]
	v_lshl_add_u64 v[4:5], v[0:1], 2, s[28:29]
	v_cmp_le_i64_e32 vcc, s[34:35], v[2:3]
	v_lshl_add_u64 v[6:7], s[36:37], 2, v[4:5]
	s_or_b64 s[70:71], vcc, s[70:71]
	v_lshl_add_u64 v[8:9], v[6:7], 0, s[74:75]
	s_waitcnt vmcnt(4)
	v_mul_lo_u32 v0, v13, v12
	s_waitcnt vmcnt(2)
	v_mul_lo_u32 v13, v10, v13
	;; [unrolled: 2-line block ×4, first 2 shown]
	v_mul_lo_u32 v11, v11, v14
	v_mul_lo_u32 v10, v10, v15
	v_sub_u32_e32 v0, v0, v16
	v_sub_u32_e32 v11, v11, v13
	;; [unrolled: 1-line block ×3, first 2 shown]
	global_store_dword v[4:5], v0, off
	global_store_dword v[6:7], v11, off
	global_store_dword v[8:9], v10, off
	s_andn2_b64 exec, exec, s[70:71]
	s_cbranch_execz .LBB4_17
.LBB4_3:                                ; =>This Loop Header: Depth=1
                                        ;     Child Loop BB4_7 Depth 2
                                        ;     Child Loop BB4_11 Depth 2
	s_andn2_b64 vcc, exec, s[0:1]
	s_mov_b64 s[12:13], -1
                                        ; implicit-def: $vgpr6
                                        ; implicit-def: $vgpr4
	s_cbranch_vccnz .LBB4_14
; %bb.4:                                ;   in Loop: Header=BB4_3 Depth=1
	v_mov_b32_e32 v6, 0
	s_andn2_b64 vcc, exec, s[54:55]
	v_mov_b32_e32 v4, 0
	v_mov_b32_e32 v0, 0
	s_cbranch_vccnz .LBB4_13
; %bb.5:                                ;   in Loop: Header=BB4_3 Depth=1
	s_andn2_b64 vcc, exec, s[2:3]
	s_cbranch_vccnz .LBB4_9
; %bb.6:                                ;   in Loop: Header=BB4_3 Depth=1
	v_mov_b32_e32 v8, 0
	s_mov_b32 s42, 0
	s_mov_b64 s[76:77], s[56:57]
	v_mov_b32_e32 v0, v2
	v_mov_b32_e32 v4, 0
	;; [unrolled: 1-line block ×3, first 2 shown]
.LBB4_7:                                ;   Parent Loop BB4_3 Depth=1
                                        ; =>  This Inner Loop Header: Depth=2
	s_load_dwordx8 s[12:19], s[76:77], 0x0
	s_load_dwordx4 s[44:47], s[76:77], 0x20
	s_load_dwordx4 s[48:51], s[76:77], 0xe0
	s_load_dwordx8 s[20:27], s[76:77], 0xc0
	s_add_i32 s42, s42, 4
	s_waitcnt lgkmcnt(0)
	v_mul_hi_u32 v5, s13, v0
	v_add_u32_e32 v5, v0, v5
	v_lshrrev_b32_e32 v5, s14, v5
	v_mul_lo_u32 v7, v5, s12
	v_mul_hi_u32 v9, s16, v5
	v_sub_u32_e32 v0, v0, v7
	v_add_u32_e32 v7, v5, v9
	v_lshrrev_b32_e32 v7, s17, v7
	v_mul_lo_u32 v11, v7, s15
	v_mul_hi_u32 v12, s19, v7
	v_sub_u32_e32 v5, v5, v11
	v_add_u32_e32 v11, v7, v12
	v_mul_lo_u32 v9, v0, s20
	v_mul_lo_u32 v10, v0, s22
	;; [unrolled: 1-line block ×6, first 2 shown]
	v_lshrrev_b32_e32 v11, s44, v11
	v_add3_u32 v4, v0, v4, v5
	v_add3_u32 v5, v10, v6, v13
	v_mul_lo_u32 v0, v11, s18
	v_mul_hi_u32 v6, s46, v11
	v_sub_u32_e32 v0, v7, v0
	v_add_u32_e32 v6, v11, v6
	v_add3_u32 v8, v9, v8, v12
	v_mul_lo_u32 v7, v0, s26
	v_mul_lo_u32 v9, v0, s27
	;; [unrolled: 1-line block ×3, first 2 shown]
	v_lshrrev_b32_e32 v0, s47, v6
	v_mul_lo_u32 v6, v0, s45
	s_add_u32 s76, s76, 48
	v_sub_u32_e32 v6, v11, v6
	s_addc_u32 s77, s77, 0
	v_mul_lo_u32 v11, v6, s49
	v_mul_lo_u32 v12, v6, s50
	;; [unrolled: 1-line block ×3, first 2 shown]
	s_cmp_lg_u32 s41, s42
	v_add3_u32 v8, v7, v8, v11
	v_add3_u32 v6, v10, v5, v6
	;; [unrolled: 1-line block ×3, first 2 shown]
	s_cbranch_scc1 .LBB4_7
; %bb.8:                                ;   in Loop: Header=BB4_3 Depth=1
	v_mov_b32_e32 v5, v6
	s_mov_b32 s12, s41
	s_andn2_b64 vcc, exec, s[66:67]
	s_cbranch_vccz .LBB4_10
	s_branch .LBB4_12
.LBB4_9:                                ;   in Loop: Header=BB4_3 Depth=1
	v_mov_b32_e32 v0, v1
	s_mov_b32 s12, 0
	v_mov_b32_e32 v8, 0
                                        ; implicit-def: $vgpr6
	v_mov_b64_e32 v[4:5], v[0:1]
	v_mov_b32_e32 v0, v2
	s_andn2_b64 vcc, exec, s[66:67]
	s_cbranch_vccnz .LBB4_12
.LBB4_10:                               ;   in Loop: Header=BB4_3 Depth=1
	s_mul_i32 s12, s12, 12
	s_add_u32 s12, s56, s12
	s_addc_u32 s13, s57, 0
	s_mov_b32 s14, s9
.LBB4_11:                               ;   Parent Loop BB4_3 Depth=1
                                        ; =>  This Inner Loop Header: Depth=2
	s_load_dwordx2 s[16:17], s[12:13], 0x0
	s_load_dword s15, s[12:13], 0x8
	s_load_dwordx2 s[18:19], s[12:13], 0xc0
	s_load_dword s20, s[12:13], 0xc8
	v_mov_b32_e32 v6, v5
	s_waitcnt lgkmcnt(0)
	v_mul_hi_u32 v5, s17, v0
	v_add_u32_e32 v5, v0, v5
	v_lshrrev_b32_e32 v5, s15, v5
	v_mul_lo_u32 v7, v5, s16
	s_add_u32 s12, s12, 12
	v_sub_u32_e32 v10, v0, v7
	s_addc_u32 s13, s13, 0
	s_add_i32 s14, s14, -1
	v_mov_b32_e32 v0, v5
	v_mad_u64_u32 v[6:7], s[16:17], v10, s20, v[6:7]
	v_mad_u64_u32 v[4:5], s[16:17], v10, s19, v[4:5]
	s_cmp_lg_u32 s14, 0
	v_mad_u64_u32 v[8:9], s[16:17], v10, s18, v[8:9]
	v_mov_b32_e32 v5, v6
	s_cbranch_scc1 .LBB4_11
.LBB4_12:                               ;   in Loop: Header=BB4_3 Depth=1
	v_mov_b32_e32 v0, v8
.LBB4_13:                               ;   in Loop: Header=BB4_3 Depth=1
	s_mov_b64 s[12:13], 0
.LBB4_14:                               ;   in Loop: Header=BB4_3 Depth=1
	s_andn2_b64 vcc, exec, s[12:13]
	s_cbranch_vccnz .LBB4_2
; %bb.15:                               ;   in Loop: Header=BB4_3 Depth=1
	v_mul_lo_u32 v0, v3, s6
	v_mul_hi_u32 v4, v2, s6
	v_add3_u32 v0, v4, v0, v2
	v_lshrrev_b32_e32 v5, s7, v0
	v_mul_lo_u32 v0, v5, s5
	v_sub_u32_e32 v4, v2, v0
	v_mul_lo_u32 v0, v4, s40
	v_mul_lo_u32 v6, v4, s33
	s_andn2_b64 vcc, exec, s[62:63]
	v_mul_lo_u32 v4, v4, s11
	s_cbranch_vccnz .LBB4_2
; %bb.16:                               ;   in Loop: Header=BB4_3 Depth=1
	v_mul_hi_u32 v7, s4, v5
	v_add_u32_e32 v7, v5, v7
	v_lshrrev_b32_e32 v7, s10, v7
	v_mul_lo_u32 v7, v7, s8
	v_sub_u32_e32 v7, v5, v7
	v_mad_u64_u32 v[8:9], s[12:13], v7, s43, v[0:1]
	v_mad_u64_u32 v[4:5], s[12:13], v7, s60, v[4:5]
	;; [unrolled: 1-line block ×3, first 2 shown]
	v_mov_b32_e32 v0, v8
	s_branch .LBB4_2
.LBB4_17:
	s_endpgm
	.section	.rodata,"a",@progbits
	.p2align	6, 0x0
	.amdhsa_kernel _ZN2at6native12cross_kernelIi16OffsetCalculatorILi3EjLb0EElEEviPT_PKS4_S7_T0_T1_S9_S9_
		.amdhsa_group_segment_fixed_size 0
		.amdhsa_private_segment_fixed_size 0
		.amdhsa_kernarg_size 704
		.amdhsa_user_sgpr_count 2
		.amdhsa_user_sgpr_dispatch_ptr 0
		.amdhsa_user_sgpr_queue_ptr 0
		.amdhsa_user_sgpr_kernarg_segment_ptr 1
		.amdhsa_user_sgpr_dispatch_id 0
		.amdhsa_user_sgpr_kernarg_preload_length 0
		.amdhsa_user_sgpr_kernarg_preload_offset 0
		.amdhsa_user_sgpr_private_segment_size 0
		.amdhsa_uses_dynamic_stack 0
		.amdhsa_enable_private_segment 0
		.amdhsa_system_sgpr_workgroup_id_x 1
		.amdhsa_system_sgpr_workgroup_id_y 0
		.amdhsa_system_sgpr_workgroup_id_z 0
		.amdhsa_system_sgpr_workgroup_info 0
		.amdhsa_system_vgpr_workitem_id 0
		.amdhsa_next_free_vgpr 17
		.amdhsa_next_free_sgpr 78
		.amdhsa_accum_offset 20
		.amdhsa_reserve_vcc 1
		.amdhsa_float_round_mode_32 0
		.amdhsa_float_round_mode_16_64 0
		.amdhsa_float_denorm_mode_32 3
		.amdhsa_float_denorm_mode_16_64 3
		.amdhsa_dx10_clamp 1
		.amdhsa_ieee_mode 1
		.amdhsa_fp16_overflow 0
		.amdhsa_tg_split 0
		.amdhsa_exception_fp_ieee_invalid_op 0
		.amdhsa_exception_fp_denorm_src 0
		.amdhsa_exception_fp_ieee_div_zero 0
		.amdhsa_exception_fp_ieee_overflow 0
		.amdhsa_exception_fp_ieee_underflow 0
		.amdhsa_exception_fp_ieee_inexact 0
		.amdhsa_exception_int_div_zero 0
	.end_amdhsa_kernel
	.section	.text._ZN2at6native12cross_kernelIi16OffsetCalculatorILi3EjLb0EElEEviPT_PKS4_S7_T0_T1_S9_S9_,"axG",@progbits,_ZN2at6native12cross_kernelIi16OffsetCalculatorILi3EjLb0EElEEviPT_PKS4_S7_T0_T1_S9_S9_,comdat
.Lfunc_end4:
	.size	_ZN2at6native12cross_kernelIi16OffsetCalculatorILi3EjLb0EElEEviPT_PKS4_S7_T0_T1_S9_S9_, .Lfunc_end4-_ZN2at6native12cross_kernelIi16OffsetCalculatorILi3EjLb0EElEEviPT_PKS4_S7_T0_T1_S9_S9_
                                        ; -- End function
	.set _ZN2at6native12cross_kernelIi16OffsetCalculatorILi3EjLb0EElEEviPT_PKS4_S7_T0_T1_S9_S9_.num_vgpr, 17
	.set _ZN2at6native12cross_kernelIi16OffsetCalculatorILi3EjLb0EElEEviPT_PKS4_S7_T0_T1_S9_S9_.num_agpr, 0
	.set _ZN2at6native12cross_kernelIi16OffsetCalculatorILi3EjLb0EElEEviPT_PKS4_S7_T0_T1_S9_S9_.numbered_sgpr, 78
	.set _ZN2at6native12cross_kernelIi16OffsetCalculatorILi3EjLb0EElEEviPT_PKS4_S7_T0_T1_S9_S9_.num_named_barrier, 0
	.set _ZN2at6native12cross_kernelIi16OffsetCalculatorILi3EjLb0EElEEviPT_PKS4_S7_T0_T1_S9_S9_.private_seg_size, 0
	.set _ZN2at6native12cross_kernelIi16OffsetCalculatorILi3EjLb0EElEEviPT_PKS4_S7_T0_T1_S9_S9_.uses_vcc, 1
	.set _ZN2at6native12cross_kernelIi16OffsetCalculatorILi3EjLb0EElEEviPT_PKS4_S7_T0_T1_S9_S9_.uses_flat_scratch, 0
	.set _ZN2at6native12cross_kernelIi16OffsetCalculatorILi3EjLb0EElEEviPT_PKS4_S7_T0_T1_S9_S9_.has_dyn_sized_stack, 0
	.set _ZN2at6native12cross_kernelIi16OffsetCalculatorILi3EjLb0EElEEviPT_PKS4_S7_T0_T1_S9_S9_.has_recursion, 0
	.set _ZN2at6native12cross_kernelIi16OffsetCalculatorILi3EjLb0EElEEviPT_PKS4_S7_T0_T1_S9_S9_.has_indirect_call, 0
	.section	.AMDGPU.csdata,"",@progbits
; Kernel info:
; codeLenInByte = 1228
; TotalNumSgprs: 84
; NumVgprs: 17
; NumAgprs: 0
; TotalNumVgprs: 17
; ScratchSize: 0
; MemoryBound: 0
; FloatMode: 240
; IeeeMode: 1
; LDSByteSize: 0 bytes/workgroup (compile time only)
; SGPRBlocks: 10
; VGPRBlocks: 2
; NumSGPRsForWavesPerEU: 84
; NumVGPRsForWavesPerEU: 17
; AccumOffset: 20
; Occupancy: 8
; WaveLimiterHint : 1
; COMPUTE_PGM_RSRC2:SCRATCH_EN: 0
; COMPUTE_PGM_RSRC2:USER_SGPR: 2
; COMPUTE_PGM_RSRC2:TRAP_HANDLER: 0
; COMPUTE_PGM_RSRC2:TGID_X_EN: 1
; COMPUTE_PGM_RSRC2:TGID_Y_EN: 0
; COMPUTE_PGM_RSRC2:TGID_Z_EN: 0
; COMPUTE_PGM_RSRC2:TIDIG_COMP_CNT: 0
; COMPUTE_PGM_RSRC3_GFX90A:ACCUM_OFFSET: 4
; COMPUTE_PGM_RSRC3_GFX90A:TG_SPLIT: 0
	.section	.text._ZN2at6native12cross_kernelIi16OffsetCalculatorILi3EjLb0EEiEEviPT_PKS4_S7_T0_T1_S9_S9_,"axG",@progbits,_ZN2at6native12cross_kernelIi16OffsetCalculatorILi3EjLb0EEiEEviPT_PKS4_S7_T0_T1_S9_S9_,comdat
	.protected	_ZN2at6native12cross_kernelIi16OffsetCalculatorILi3EjLb0EEiEEviPT_PKS4_S7_T0_T1_S9_S9_ ; -- Begin function _ZN2at6native12cross_kernelIi16OffsetCalculatorILi3EjLb0EEiEEviPT_PKS4_S7_T0_T1_S9_S9_
	.globl	_ZN2at6native12cross_kernelIi16OffsetCalculatorILi3EjLb0EEiEEviPT_PKS4_S7_T0_T1_S9_S9_
	.p2align	8
	.type	_ZN2at6native12cross_kernelIi16OffsetCalculatorILi3EjLb0EEiEEviPT_PKS4_S7_T0_T1_S9_S9_,@function
_ZN2at6native12cross_kernelIi16OffsetCalculatorILi3EjLb0EEiEEviPT_PKS4_S7_T0_T1_S9_S9_: ; @_ZN2at6native12cross_kernelIi16OffsetCalculatorILi3EjLb0EEiEEviPT_PKS4_S7_T0_T1_S9_S9_
; %bb.0:
	s_load_dword s34, s[0:1], 0x0
	s_load_dword s3, s[0:1], 0x1bc
	v_mov_b32_e32 v1, 0
	v_mov_b32_e32 v2, s2
	s_waitcnt lgkmcnt(0)
	s_ashr_i32 s35, s34, 31
	s_add_u32 s12, s0, 0x1b0
	s_addc_u32 s13, s1, 0
	s_and_b32 s3, s3, 0xffff
	v_mad_u64_u32 v[2:3], s[4:5], s3, v2, v[0:1]
	v_cmp_gt_i64_e32 vcc, s[34:35], v[2:3]
	s_and_saveexec_b64 s[4:5], vcc
	s_cbranch_execz .LBB5_17
; %bb.1:
	s_load_dwordx8 s[4:11], s[0:1], 0x20
	s_load_dwordx4 s[28:31], s[0:1], 0x8
	s_load_dwordx2 s[52:53], s[0:1], 0x18
	s_load_dwordx4 s[36:39], s[0:1], 0x1a4
	s_load_dword s2, s[12:13], 0x0
	s_waitcnt lgkmcnt(0)
	v_sub_co_u32_e64 v0, s[12:13], s4, 1
	s_xor_b64 s[54:55], s[12:13], -1
	s_load_dwordx4 s[40:43], s[0:1], 0xe4
	s_load_dwordx2 s[60:61], s[0:1], 0xf4
	s_add_u32 s56, s0, 36
	v_readfirstlane_b32 s11, v0
	s_addc_u32 s57, s1, 0
	s_min_u32 s12, s11, 15
	s_cmp_gt_u32 s4, 1
	s_cselect_b64 s[62:63], -1, 0
	s_lshl_b32 s66, s38, 1
	s_add_i32 s12, s12, 1
	s_waitcnt lgkmcnt(0)
	s_mov_b32 s11, s41
	s_mov_b32 s4, s9
	s_ashr_i32 s65, s37, 31
	s_mov_b32 s64, s37
	s_ashr_i32 s67, s66, 31
	s_ashr_i32 s37, s36, 31
	s_and_b32 s9, s12, 3
	s_and_b32 s41, s12, 28
	s_cmp_lg_u32 s9, 0
	s_cselect_b64 s[68:69], -1, 0
	s_ashr_i32 s39, s38, 31
	s_lshl_b64 s[70:71], s[64:65], 2
	s_lshl_b64 s[0:1], s[38:39], 2
	s_sub_u32 s72, 0, s0
	s_mov_b32 s59, 0
	s_mov_b32 s33, s42
	s_mul_i32 s58, s2, s3
	s_mov_b64 s[38:39], 0
	s_subb_u32 s73, 0, s1
	s_lshl_b64 s[74:75], s[36:37], 2
	v_cmp_lt_u32_e64 s[0:1], 1, v0
	v_cmp_ne_u32_e64 s[2:3], 2, v0
	s_branch .LBB5_3
.LBB5_2:                                ;   in Loop: Header=BB5_3 Depth=1
	v_mov_b32_e32 v5, v1
	v_lshl_add_u64 v[4:5], v[4:5], 2, s[30:31]
	v_mov_b32_e32 v7, v1
	v_lshl_add_u64 v[6:7], v[6:7], 2, s[52:53]
	v_lshl_add_u64 v[8:9], s[64:65], 2, v[4:5]
	global_load_dword v12, v[8:9], off
	v_lshl_add_u64 v[10:11], s[66:67], 2, v[6:7]
	v_lshl_add_u64 v[8:9], v[8:9], 0, s[70:71]
	global_load_dword v13, v[10:11], off
	global_load_dword v14, v[8:9], off
	v_lshl_add_u64 v[8:9], v[10:11], 0, s[72:73]
	global_load_dword v10, v[4:5], off
	global_load_dword v11, v[6:7], off
	;; [unrolled: 1-line block ×3, first 2 shown]
	v_lshl_add_u64 v[2:3], v[2:3], 0, s[58:59]
	v_lshl_add_u64 v[4:5], v[0:1], 2, s[28:29]
	v_cmp_le_i64_e32 vcc, s[34:35], v[2:3]
	v_lshl_add_u64 v[6:7], s[36:37], 2, v[4:5]
	s_or_b64 s[38:39], vcc, s[38:39]
	v_lshl_add_u64 v[8:9], v[6:7], 0, s[74:75]
	s_waitcnt vmcnt(4)
	v_mul_lo_u32 v0, v13, v12
	s_waitcnt vmcnt(2)
	v_mul_lo_u32 v13, v10, v13
	s_waitcnt vmcnt(1)
	v_mul_lo_u32 v12, v11, v12
	s_waitcnt vmcnt(0)
	v_mul_lo_u32 v16, v15, v14
	v_mul_lo_u32 v11, v11, v14
	v_mul_lo_u32 v10, v10, v15
	v_sub_u32_e32 v0, v0, v16
	v_sub_u32_e32 v11, v11, v13
	v_sub_u32_e32 v10, v10, v12
	global_store_dword v[4:5], v0, off
	global_store_dword v[6:7], v11, off
	;; [unrolled: 1-line block ×3, first 2 shown]
	s_andn2_b64 exec, exec, s[38:39]
	s_cbranch_execz .LBB5_17
.LBB5_3:                                ; =>This Loop Header: Depth=1
                                        ;     Child Loop BB5_7 Depth 2
                                        ;     Child Loop BB5_11 Depth 2
	s_andn2_b64 vcc, exec, s[0:1]
	s_mov_b64 s[12:13], -1
                                        ; implicit-def: $vgpr6
                                        ; implicit-def: $vgpr4
	s_cbranch_vccnz .LBB5_14
; %bb.4:                                ;   in Loop: Header=BB5_3 Depth=1
	v_mov_b32_e32 v6, 0
	s_andn2_b64 vcc, exec, s[54:55]
	v_mov_b32_e32 v4, 0
	v_mov_b32_e32 v0, 0
	s_cbranch_vccnz .LBB5_13
; %bb.5:                                ;   in Loop: Header=BB5_3 Depth=1
	s_andn2_b64 vcc, exec, s[2:3]
	s_cbranch_vccnz .LBB5_9
; %bb.6:                                ;   in Loop: Header=BB5_3 Depth=1
	v_mov_b32_e32 v8, 0
	s_mov_b32 s42, 0
	s_mov_b64 s[76:77], s[56:57]
	v_mov_b32_e32 v0, v2
	v_mov_b32_e32 v4, 0
	;; [unrolled: 1-line block ×3, first 2 shown]
.LBB5_7:                                ;   Parent Loop BB5_3 Depth=1
                                        ; =>  This Inner Loop Header: Depth=2
	s_load_dwordx8 s[12:19], s[76:77], 0x0
	s_load_dwordx4 s[44:47], s[76:77], 0x20
	s_load_dwordx4 s[48:51], s[76:77], 0xe0
	s_load_dwordx8 s[20:27], s[76:77], 0xc0
	s_add_i32 s42, s42, 4
	s_waitcnt lgkmcnt(0)
	v_mul_hi_u32 v5, s13, v0
	v_add_u32_e32 v5, v0, v5
	v_lshrrev_b32_e32 v5, s14, v5
	v_mul_lo_u32 v7, v5, s12
	v_mul_hi_u32 v9, s16, v5
	v_sub_u32_e32 v0, v0, v7
	v_add_u32_e32 v7, v5, v9
	v_lshrrev_b32_e32 v7, s17, v7
	v_mul_lo_u32 v11, v7, s15
	v_mul_hi_u32 v12, s19, v7
	v_sub_u32_e32 v5, v5, v11
	v_add_u32_e32 v11, v7, v12
	v_mul_lo_u32 v9, v0, s20
	v_mul_lo_u32 v10, v0, s22
	;; [unrolled: 1-line block ×6, first 2 shown]
	v_lshrrev_b32_e32 v11, s44, v11
	v_add3_u32 v4, v0, v4, v5
	v_add3_u32 v5, v10, v6, v13
	v_mul_lo_u32 v0, v11, s18
	v_mul_hi_u32 v6, s46, v11
	v_sub_u32_e32 v0, v7, v0
	v_add_u32_e32 v6, v11, v6
	v_add3_u32 v8, v9, v8, v12
	v_mul_lo_u32 v7, v0, s26
	v_mul_lo_u32 v9, v0, s27
	;; [unrolled: 1-line block ×3, first 2 shown]
	v_lshrrev_b32_e32 v0, s47, v6
	v_mul_lo_u32 v6, v0, s45
	s_add_u32 s76, s76, 48
	v_sub_u32_e32 v6, v11, v6
	s_addc_u32 s77, s77, 0
	v_mul_lo_u32 v11, v6, s49
	v_mul_lo_u32 v12, v6, s50
	;; [unrolled: 1-line block ×3, first 2 shown]
	s_cmp_lg_u32 s41, s42
	v_add3_u32 v8, v7, v8, v11
	v_add3_u32 v6, v10, v5, v6
	;; [unrolled: 1-line block ×3, first 2 shown]
	s_cbranch_scc1 .LBB5_7
; %bb.8:                                ;   in Loop: Header=BB5_3 Depth=1
	v_mov_b32_e32 v5, v6
	s_mov_b32 s12, s41
	s_andn2_b64 vcc, exec, s[68:69]
	s_cbranch_vccz .LBB5_10
	s_branch .LBB5_12
.LBB5_9:                                ;   in Loop: Header=BB5_3 Depth=1
	v_mov_b32_e32 v0, v1
	s_mov_b32 s12, 0
	v_mov_b32_e32 v8, 0
                                        ; implicit-def: $vgpr6
	v_mov_b64_e32 v[4:5], v[0:1]
	v_mov_b32_e32 v0, v2
	s_andn2_b64 vcc, exec, s[68:69]
	s_cbranch_vccnz .LBB5_12
.LBB5_10:                               ;   in Loop: Header=BB5_3 Depth=1
	s_mul_i32 s12, s12, 12
	s_add_u32 s12, s56, s12
	s_addc_u32 s13, s57, 0
	s_mov_b32 s14, s9
.LBB5_11:                               ;   Parent Loop BB5_3 Depth=1
                                        ; =>  This Inner Loop Header: Depth=2
	s_load_dwordx2 s[16:17], s[12:13], 0x0
	s_load_dword s15, s[12:13], 0x8
	s_load_dwordx2 s[18:19], s[12:13], 0xc0
	s_load_dword s20, s[12:13], 0xc8
	v_mov_b32_e32 v6, v5
	s_waitcnt lgkmcnt(0)
	v_mul_hi_u32 v5, s17, v0
	v_add_u32_e32 v5, v0, v5
	v_lshrrev_b32_e32 v5, s15, v5
	v_mul_lo_u32 v7, v5, s16
	s_add_u32 s12, s12, 12
	v_sub_u32_e32 v10, v0, v7
	s_addc_u32 s13, s13, 0
	s_add_i32 s14, s14, -1
	v_mov_b32_e32 v0, v5
	v_mad_u64_u32 v[6:7], s[16:17], v10, s20, v[6:7]
	v_mad_u64_u32 v[4:5], s[16:17], v10, s19, v[4:5]
	s_cmp_lg_u32 s14, 0
	v_mad_u64_u32 v[8:9], s[16:17], v10, s18, v[8:9]
	v_mov_b32_e32 v5, v6
	s_cbranch_scc1 .LBB5_11
.LBB5_12:                               ;   in Loop: Header=BB5_3 Depth=1
	v_mov_b32_e32 v0, v8
.LBB5_13:                               ;   in Loop: Header=BB5_3 Depth=1
	s_mov_b64 s[12:13], 0
.LBB5_14:                               ;   in Loop: Header=BB5_3 Depth=1
	s_andn2_b64 vcc, exec, s[12:13]
	s_cbranch_vccnz .LBB5_2
; %bb.15:                               ;   in Loop: Header=BB5_3 Depth=1
	v_mul_lo_u32 v0, v3, s6
	v_mul_hi_u32 v4, v2, s6
	v_add3_u32 v0, v4, v0, v2
	v_lshrrev_b32_e32 v5, s7, v0
	v_mul_lo_u32 v0, v5, s5
	v_sub_u32_e32 v4, v2, v0
	v_mul_lo_u32 v0, v4, s40
	v_mul_lo_u32 v6, v4, s33
	s_andn2_b64 vcc, exec, s[62:63]
	v_mul_lo_u32 v4, v4, s11
	s_cbranch_vccnz .LBB5_2
; %bb.16:                               ;   in Loop: Header=BB5_3 Depth=1
	v_mul_hi_u32 v7, s4, v5
	v_add_u32_e32 v7, v5, v7
	v_lshrrev_b32_e32 v7, s10, v7
	v_mul_lo_u32 v7, v7, s8
	v_sub_u32_e32 v7, v5, v7
	v_mad_u64_u32 v[8:9], s[12:13], v7, s43, v[0:1]
	v_mad_u64_u32 v[4:5], s[12:13], v7, s60, v[4:5]
	;; [unrolled: 1-line block ×3, first 2 shown]
	v_mov_b32_e32 v0, v8
	s_branch .LBB5_2
.LBB5_17:
	s_endpgm
	.section	.rodata,"a",@progbits
	.p2align	6, 0x0
	.amdhsa_kernel _ZN2at6native12cross_kernelIi16OffsetCalculatorILi3EjLb0EEiEEviPT_PKS4_S7_T0_T1_S9_S9_
		.amdhsa_group_segment_fixed_size 0
		.amdhsa_private_segment_fixed_size 0
		.amdhsa_kernarg_size 688
		.amdhsa_user_sgpr_count 2
		.amdhsa_user_sgpr_dispatch_ptr 0
		.amdhsa_user_sgpr_queue_ptr 0
		.amdhsa_user_sgpr_kernarg_segment_ptr 1
		.amdhsa_user_sgpr_dispatch_id 0
		.amdhsa_user_sgpr_kernarg_preload_length 0
		.amdhsa_user_sgpr_kernarg_preload_offset 0
		.amdhsa_user_sgpr_private_segment_size 0
		.amdhsa_uses_dynamic_stack 0
		.amdhsa_enable_private_segment 0
		.amdhsa_system_sgpr_workgroup_id_x 1
		.amdhsa_system_sgpr_workgroup_id_y 0
		.amdhsa_system_sgpr_workgroup_id_z 0
		.amdhsa_system_sgpr_workgroup_info 0
		.amdhsa_system_vgpr_workitem_id 0
		.amdhsa_next_free_vgpr 17
		.amdhsa_next_free_sgpr 78
		.amdhsa_accum_offset 20
		.amdhsa_reserve_vcc 1
		.amdhsa_float_round_mode_32 0
		.amdhsa_float_round_mode_16_64 0
		.amdhsa_float_denorm_mode_32 3
		.amdhsa_float_denorm_mode_16_64 3
		.amdhsa_dx10_clamp 1
		.amdhsa_ieee_mode 1
		.amdhsa_fp16_overflow 0
		.amdhsa_tg_split 0
		.amdhsa_exception_fp_ieee_invalid_op 0
		.amdhsa_exception_fp_denorm_src 0
		.amdhsa_exception_fp_ieee_div_zero 0
		.amdhsa_exception_fp_ieee_overflow 0
		.amdhsa_exception_fp_ieee_underflow 0
		.amdhsa_exception_fp_ieee_inexact 0
		.amdhsa_exception_int_div_zero 0
	.end_amdhsa_kernel
	.section	.text._ZN2at6native12cross_kernelIi16OffsetCalculatorILi3EjLb0EEiEEviPT_PKS4_S7_T0_T1_S9_S9_,"axG",@progbits,_ZN2at6native12cross_kernelIi16OffsetCalculatorILi3EjLb0EEiEEviPT_PKS4_S7_T0_T1_S9_S9_,comdat
.Lfunc_end5:
	.size	_ZN2at6native12cross_kernelIi16OffsetCalculatorILi3EjLb0EEiEEviPT_PKS4_S7_T0_T1_S9_S9_, .Lfunc_end5-_ZN2at6native12cross_kernelIi16OffsetCalculatorILi3EjLb0EEiEEviPT_PKS4_S7_T0_T1_S9_S9_
                                        ; -- End function
	.set _ZN2at6native12cross_kernelIi16OffsetCalculatorILi3EjLb0EEiEEviPT_PKS4_S7_T0_T1_S9_S9_.num_vgpr, 17
	.set _ZN2at6native12cross_kernelIi16OffsetCalculatorILi3EjLb0EEiEEviPT_PKS4_S7_T0_T1_S9_S9_.num_agpr, 0
	.set _ZN2at6native12cross_kernelIi16OffsetCalculatorILi3EjLb0EEiEEviPT_PKS4_S7_T0_T1_S9_S9_.numbered_sgpr, 78
	.set _ZN2at6native12cross_kernelIi16OffsetCalculatorILi3EjLb0EEiEEviPT_PKS4_S7_T0_T1_S9_S9_.num_named_barrier, 0
	.set _ZN2at6native12cross_kernelIi16OffsetCalculatorILi3EjLb0EEiEEviPT_PKS4_S7_T0_T1_S9_S9_.private_seg_size, 0
	.set _ZN2at6native12cross_kernelIi16OffsetCalculatorILi3EjLb0EEiEEviPT_PKS4_S7_T0_T1_S9_S9_.uses_vcc, 1
	.set _ZN2at6native12cross_kernelIi16OffsetCalculatorILi3EjLb0EEiEEviPT_PKS4_S7_T0_T1_S9_S9_.uses_flat_scratch, 0
	.set _ZN2at6native12cross_kernelIi16OffsetCalculatorILi3EjLb0EEiEEviPT_PKS4_S7_T0_T1_S9_S9_.has_dyn_sized_stack, 0
	.set _ZN2at6native12cross_kernelIi16OffsetCalculatorILi3EjLb0EEiEEviPT_PKS4_S7_T0_T1_S9_S9_.has_recursion, 0
	.set _ZN2at6native12cross_kernelIi16OffsetCalculatorILi3EjLb0EEiEEviPT_PKS4_S7_T0_T1_S9_S9_.has_indirect_call, 0
	.section	.AMDGPU.csdata,"",@progbits
; Kernel info:
; codeLenInByte = 1244
; TotalNumSgprs: 84
; NumVgprs: 17
; NumAgprs: 0
; TotalNumVgprs: 17
; ScratchSize: 0
; MemoryBound: 0
; FloatMode: 240
; IeeeMode: 1
; LDSByteSize: 0 bytes/workgroup (compile time only)
; SGPRBlocks: 10
; VGPRBlocks: 2
; NumSGPRsForWavesPerEU: 84
; NumVGPRsForWavesPerEU: 17
; AccumOffset: 20
; Occupancy: 8
; WaveLimiterHint : 1
; COMPUTE_PGM_RSRC2:SCRATCH_EN: 0
; COMPUTE_PGM_RSRC2:USER_SGPR: 2
; COMPUTE_PGM_RSRC2:TRAP_HANDLER: 0
; COMPUTE_PGM_RSRC2:TGID_X_EN: 1
; COMPUTE_PGM_RSRC2:TGID_Y_EN: 0
; COMPUTE_PGM_RSRC2:TGID_Z_EN: 0
; COMPUTE_PGM_RSRC2:TIDIG_COMP_CNT: 0
; COMPUTE_PGM_RSRC3_GFX90A:ACCUM_OFFSET: 4
; COMPUTE_PGM_RSRC3_GFX90A:TG_SPLIT: 0
	.section	.text._ZN2at6native12cross_kernelIl16OffsetCalculatorILi3EjLb0EElEEviPT_PKS4_S7_T0_T1_S9_S9_,"axG",@progbits,_ZN2at6native12cross_kernelIl16OffsetCalculatorILi3EjLb0EElEEviPT_PKS4_S7_T0_T1_S9_S9_,comdat
	.protected	_ZN2at6native12cross_kernelIl16OffsetCalculatorILi3EjLb0EElEEviPT_PKS4_S7_T0_T1_S9_S9_ ; -- Begin function _ZN2at6native12cross_kernelIl16OffsetCalculatorILi3EjLb0EElEEviPT_PKS4_S7_T0_T1_S9_S9_
	.globl	_ZN2at6native12cross_kernelIl16OffsetCalculatorILi3EjLb0EElEEviPT_PKS4_S7_T0_T1_S9_S9_
	.p2align	8
	.type	_ZN2at6native12cross_kernelIl16OffsetCalculatorILi3EjLb0EElEEviPT_PKS4_S7_T0_T1_S9_S9_,@function
_ZN2at6native12cross_kernelIl16OffsetCalculatorILi3EjLb0EElEEviPT_PKS4_S7_T0_T1_S9_S9_: ; @_ZN2at6native12cross_kernelIl16OffsetCalculatorILi3EjLb0EElEEviPT_PKS4_S7_T0_T1_S9_S9_
; %bb.0:
	s_load_dword s34, s[0:1], 0x0
	s_load_dword s3, s[0:1], 0x1cc
	v_mov_b32_e32 v1, 0
	v_mov_b32_e32 v2, s2
	s_waitcnt lgkmcnt(0)
	s_ashr_i32 s35, s34, 31
	s_add_u32 s12, s0, 0x1c0
	s_addc_u32 s13, s1, 0
	s_and_b32 s3, s3, 0xffff
	v_mad_u64_u32 v[2:3], s[4:5], s3, v2, v[0:1]
	v_cmp_gt_i64_e32 vcc, s[34:35], v[2:3]
	s_and_saveexec_b64 s[4:5], vcc
	s_cbranch_execz .LBB6_17
; %bb.1:
	s_load_dwordx4 s[28:31], s[0:1], 0x8
	s_load_dwordx2 s[52:53], s[0:1], 0x18
	s_load_dwordx8 s[4:11], s[0:1], 0x20
	s_load_dwordx2 s[14:15], s[0:1], 0x1b8
	s_load_dwordx4 s[36:39], s[0:1], 0x1a8
	s_load_dword s2, s[12:13], 0x0
	s_load_dwordx4 s[40:43], s[0:1], 0xe4
	s_load_dwordx2 s[60:61], s[0:1], 0xf4
	s_waitcnt lgkmcnt(0)
	v_sub_co_u32_e64 v0, s[12:13], s4, 1
	s_xor_b64 s[54:55], s[12:13], -1
	s_add_u32 s56, s0, 36
	v_readfirstlane_b32 s11, v0
	s_addc_u32 s57, s1, 0
	s_min_u32 s12, s11, 15
	s_cmp_gt_u32 s4, 1
	s_cselect_b64 s[62:63], -1, 0
	s_add_i32 s12, s12, 1
	s_mov_b32 s11, s41
	s_mov_b32 s4, s9
	s_lshl_b64 s[64:65], s[14:15], 4
	s_and_b32 s9, s12, 3
	s_and_b32 s41, s12, 28
	s_cmp_lg_u32 s9, 0
	s_cselect_b64 s[66:67], -1, 0
	s_lshl_b64 s[68:69], s[38:39], 3
	s_lshl_b64 s[0:1], s[14:15], 3
	s_sub_u32 s72, 0, s0
	s_mov_b32 s59, 0
	s_mov_b32 s33, s42
	s_mul_i32 s58, s2, s3
	s_mov_b64 s[70:71], 0
	s_subb_u32 s73, 0, s1
	s_lshl_b64 s[74:75], s[36:37], 3
	v_cmp_lt_u32_e64 s[0:1], 1, v0
	v_cmp_ne_u32_e64 s[2:3], 2, v0
	s_branch .LBB6_3
.LBB6_2:                                ;   in Loop: Header=BB6_3 Depth=1
	v_mov_b32_e32 v5, v1
	v_mov_b32_e32 v7, v1
	v_lshl_add_u64 v[4:5], v[4:5], 3, s[30:31]
	v_lshl_add_u64 v[6:7], v[6:7], 3, s[52:53]
	v_lshl_add_u64 v[8:9], s[38:39], 3, v[4:5]
	v_lshl_add_u64 v[12:13], v[6:7], 0, s[64:65]
	global_load_dwordx2 v[10:11], v[8:9], off
	global_load_dwordx2 v[14:15], v[12:13], off
	s_nop 0
	global_load_dwordx2 v[4:5], v[4:5], off
	s_nop 0
	global_load_dwordx2 v[6:7], v[6:7], off
	v_lshl_add_u64 v[8:9], v[8:9], 0, s[68:69]
	v_lshl_add_u64 v[12:13], v[12:13], 0, s[72:73]
	global_load_dwordx2 v[8:9], v[8:9], off
	s_nop 0
	global_load_dwordx2 v[12:13], v[12:13], off
	v_lshl_add_u64 v[16:17], v[0:1], 3, s[28:29]
	v_lshl_add_u64 v[2:3], v[2:3], 0, s[58:59]
	v_cmp_le_i64_e32 vcc, s[34:35], v[2:3]
	s_or_b64 s[70:71], vcc, s[70:71]
	v_lshl_add_u64 v[18:19], s[36:37], 3, v[16:17]
	v_lshl_add_u64 v[20:21], v[18:19], 0, s[74:75]
	s_waitcnt vmcnt(3)
	v_mul_lo_u32 v26, v5, v14
	v_mul_lo_u32 v0, v15, v10
	;; [unrolled: 1-line block ×3, first 2 shown]
	v_mad_u64_u32 v[22:23], s[12:13], v14, v10, 0
	v_mul_lo_u32 v27, v4, v15
	v_mad_u64_u32 v[14:15], s[12:13], v4, v14, 0
	s_waitcnt vmcnt(2)
	v_mul_lo_u32 v28, v7, v10
	v_mul_lo_u32 v29, v6, v11
	v_mad_u64_u32 v[10:11], s[12:13], v6, v10, 0
	v_add3_u32 v0, v23, v24, v0
	s_waitcnt vmcnt(0)
	v_mul_lo_u32 v23, v13, v8
	v_mul_lo_u32 v30, v12, v9
	v_mad_u64_u32 v[24:25], s[12:13], v12, v8, 0
	v_mul_lo_u32 v31, v7, v8
	v_mul_lo_u32 v9, v6, v9
	v_mad_u64_u32 v[6:7], s[12:13], v6, v8, 0
	;; [unrolled: 3-line block ×3, first 2 shown]
	v_add3_u32 v12, v25, v30, v23
	v_add3_u32 v5, v5, v13, v8
	v_sub_co_u32_e32 v8, vcc, v22, v24
	v_add3_u32 v7, v7, v9, v31
	s_nop 0
	v_subb_co_u32_e32 v9, vcc, v0, v12, vcc
	v_add3_u32 v15, v15, v27, v26
	v_sub_co_u32_e32 v6, vcc, v6, v14
	v_add3_u32 v11, v11, v29, v28
	s_nop 0
	v_subb_co_u32_e32 v7, vcc, v7, v15, vcc
	v_sub_co_u32_e32 v4, vcc, v4, v10
	s_nop 1
	v_subb_co_u32_e32 v5, vcc, v5, v11, vcc
	global_store_dwordx2 v[16:17], v[8:9], off
	global_store_dwordx2 v[18:19], v[6:7], off
	;; [unrolled: 1-line block ×3, first 2 shown]
	s_andn2_b64 exec, exec, s[70:71]
	s_cbranch_execz .LBB6_17
.LBB6_3:                                ; =>This Loop Header: Depth=1
                                        ;     Child Loop BB6_7 Depth 2
                                        ;     Child Loop BB6_11 Depth 2
	s_andn2_b64 vcc, exec, s[0:1]
	s_mov_b64 s[12:13], -1
                                        ; implicit-def: $vgpr6
                                        ; implicit-def: $vgpr4
	s_cbranch_vccnz .LBB6_14
; %bb.4:                                ;   in Loop: Header=BB6_3 Depth=1
	v_mov_b32_e32 v6, 0
	s_andn2_b64 vcc, exec, s[54:55]
	v_mov_b32_e32 v4, 0
	v_mov_b32_e32 v0, 0
	s_cbranch_vccnz .LBB6_13
; %bb.5:                                ;   in Loop: Header=BB6_3 Depth=1
	s_andn2_b64 vcc, exec, s[2:3]
	s_cbranch_vccnz .LBB6_9
; %bb.6:                                ;   in Loop: Header=BB6_3 Depth=1
	v_mov_b32_e32 v8, 0
	s_mov_b32 s42, 0
	s_mov_b64 s[76:77], s[56:57]
	v_mov_b32_e32 v0, v2
	v_mov_b32_e32 v4, 0
	;; [unrolled: 1-line block ×3, first 2 shown]
.LBB6_7:                                ;   Parent Loop BB6_3 Depth=1
                                        ; =>  This Inner Loop Header: Depth=2
	s_load_dwordx8 s[12:19], s[76:77], 0x0
	s_load_dwordx4 s[44:47], s[76:77], 0x20
	s_load_dwordx4 s[48:51], s[76:77], 0xe0
	s_load_dwordx8 s[20:27], s[76:77], 0xc0
	s_add_i32 s42, s42, 4
	s_waitcnt lgkmcnt(0)
	v_mul_hi_u32 v5, s13, v0
	v_add_u32_e32 v5, v0, v5
	v_lshrrev_b32_e32 v5, s14, v5
	v_mul_lo_u32 v7, v5, s12
	v_mul_hi_u32 v9, s16, v5
	v_sub_u32_e32 v0, v0, v7
	v_add_u32_e32 v7, v5, v9
	v_lshrrev_b32_e32 v7, s17, v7
	v_mul_lo_u32 v11, v7, s15
	v_mul_hi_u32 v12, s19, v7
	v_sub_u32_e32 v5, v5, v11
	v_add_u32_e32 v11, v7, v12
	v_mul_lo_u32 v9, v0, s20
	v_mul_lo_u32 v10, v0, s22
	;; [unrolled: 1-line block ×6, first 2 shown]
	v_lshrrev_b32_e32 v11, s44, v11
	v_add3_u32 v4, v0, v4, v5
	v_add3_u32 v5, v10, v6, v13
	v_mul_lo_u32 v0, v11, s18
	v_mul_hi_u32 v6, s46, v11
	v_sub_u32_e32 v0, v7, v0
	v_add_u32_e32 v6, v11, v6
	v_add3_u32 v8, v9, v8, v12
	v_mul_lo_u32 v7, v0, s26
	v_mul_lo_u32 v9, v0, s27
	;; [unrolled: 1-line block ×3, first 2 shown]
	v_lshrrev_b32_e32 v0, s47, v6
	v_mul_lo_u32 v6, v0, s45
	s_add_u32 s76, s76, 48
	v_sub_u32_e32 v6, v11, v6
	s_addc_u32 s77, s77, 0
	v_mul_lo_u32 v11, v6, s49
	v_mul_lo_u32 v12, v6, s50
	;; [unrolled: 1-line block ×3, first 2 shown]
	s_cmp_lg_u32 s41, s42
	v_add3_u32 v8, v7, v8, v11
	v_add3_u32 v6, v10, v5, v6
	;; [unrolled: 1-line block ×3, first 2 shown]
	s_cbranch_scc1 .LBB6_7
; %bb.8:                                ;   in Loop: Header=BB6_3 Depth=1
	v_mov_b32_e32 v5, v6
	s_mov_b32 s12, s41
	s_andn2_b64 vcc, exec, s[66:67]
	s_cbranch_vccz .LBB6_10
	s_branch .LBB6_12
.LBB6_9:                                ;   in Loop: Header=BB6_3 Depth=1
	v_mov_b32_e32 v0, v1
	s_mov_b32 s12, 0
	v_mov_b32_e32 v8, 0
                                        ; implicit-def: $vgpr6
	v_mov_b64_e32 v[4:5], v[0:1]
	v_mov_b32_e32 v0, v2
	s_andn2_b64 vcc, exec, s[66:67]
	s_cbranch_vccnz .LBB6_12
.LBB6_10:                               ;   in Loop: Header=BB6_3 Depth=1
	s_mul_i32 s12, s12, 12
	s_add_u32 s12, s56, s12
	s_addc_u32 s13, s57, 0
	s_mov_b32 s14, s9
.LBB6_11:                               ;   Parent Loop BB6_3 Depth=1
                                        ; =>  This Inner Loop Header: Depth=2
	s_load_dwordx2 s[16:17], s[12:13], 0x0
	s_load_dword s15, s[12:13], 0x8
	s_load_dwordx2 s[18:19], s[12:13], 0xc0
	s_load_dword s20, s[12:13], 0xc8
	v_mov_b32_e32 v6, v5
	s_waitcnt lgkmcnt(0)
	v_mul_hi_u32 v5, s17, v0
	v_add_u32_e32 v5, v0, v5
	v_lshrrev_b32_e32 v5, s15, v5
	v_mul_lo_u32 v7, v5, s16
	s_add_u32 s12, s12, 12
	v_sub_u32_e32 v10, v0, v7
	s_addc_u32 s13, s13, 0
	s_add_i32 s14, s14, -1
	v_mov_b32_e32 v0, v5
	v_mad_u64_u32 v[6:7], s[16:17], v10, s20, v[6:7]
	v_mad_u64_u32 v[4:5], s[16:17], v10, s19, v[4:5]
	s_cmp_lg_u32 s14, 0
	v_mad_u64_u32 v[8:9], s[16:17], v10, s18, v[8:9]
	v_mov_b32_e32 v5, v6
	s_cbranch_scc1 .LBB6_11
.LBB6_12:                               ;   in Loop: Header=BB6_3 Depth=1
	v_mov_b32_e32 v0, v8
.LBB6_13:                               ;   in Loop: Header=BB6_3 Depth=1
	s_mov_b64 s[12:13], 0
.LBB6_14:                               ;   in Loop: Header=BB6_3 Depth=1
	s_andn2_b64 vcc, exec, s[12:13]
	s_cbranch_vccnz .LBB6_2
; %bb.15:                               ;   in Loop: Header=BB6_3 Depth=1
	v_mul_lo_u32 v0, v3, s6
	v_mul_hi_u32 v4, v2, s6
	v_add3_u32 v0, v4, v0, v2
	v_lshrrev_b32_e32 v5, s7, v0
	v_mul_lo_u32 v0, v5, s5
	v_sub_u32_e32 v4, v2, v0
	v_mul_lo_u32 v0, v4, s40
	v_mul_lo_u32 v6, v4, s33
	s_andn2_b64 vcc, exec, s[62:63]
	v_mul_lo_u32 v4, v4, s11
	s_cbranch_vccnz .LBB6_2
; %bb.16:                               ;   in Loop: Header=BB6_3 Depth=1
	v_mul_hi_u32 v7, s4, v5
	v_add_u32_e32 v7, v5, v7
	v_lshrrev_b32_e32 v7, s10, v7
	v_mul_lo_u32 v7, v7, s8
	v_sub_u32_e32 v7, v5, v7
	v_mad_u64_u32 v[8:9], s[12:13], v7, s43, v[0:1]
	v_mad_u64_u32 v[4:5], s[12:13], v7, s60, v[4:5]
	v_mad_u64_u32 v[6:7], s[12:13], v7, s61, v[6:7]
	v_mov_b32_e32 v0, v8
	s_branch .LBB6_2
.LBB6_17:
	s_endpgm
	.section	.rodata,"a",@progbits
	.p2align	6, 0x0
	.amdhsa_kernel _ZN2at6native12cross_kernelIl16OffsetCalculatorILi3EjLb0EElEEviPT_PKS4_S7_T0_T1_S9_S9_
		.amdhsa_group_segment_fixed_size 0
		.amdhsa_private_segment_fixed_size 0
		.amdhsa_kernarg_size 704
		.amdhsa_user_sgpr_count 2
		.amdhsa_user_sgpr_dispatch_ptr 0
		.amdhsa_user_sgpr_queue_ptr 0
		.amdhsa_user_sgpr_kernarg_segment_ptr 1
		.amdhsa_user_sgpr_dispatch_id 0
		.amdhsa_user_sgpr_kernarg_preload_length 0
		.amdhsa_user_sgpr_kernarg_preload_offset 0
		.amdhsa_user_sgpr_private_segment_size 0
		.amdhsa_uses_dynamic_stack 0
		.amdhsa_enable_private_segment 0
		.amdhsa_system_sgpr_workgroup_id_x 1
		.amdhsa_system_sgpr_workgroup_id_y 0
		.amdhsa_system_sgpr_workgroup_id_z 0
		.amdhsa_system_sgpr_workgroup_info 0
		.amdhsa_system_vgpr_workitem_id 0
		.amdhsa_next_free_vgpr 32
		.amdhsa_next_free_sgpr 78
		.amdhsa_accum_offset 32
		.amdhsa_reserve_vcc 1
		.amdhsa_float_round_mode_32 0
		.amdhsa_float_round_mode_16_64 0
		.amdhsa_float_denorm_mode_32 3
		.amdhsa_float_denorm_mode_16_64 3
		.amdhsa_dx10_clamp 1
		.amdhsa_ieee_mode 1
		.amdhsa_fp16_overflow 0
		.amdhsa_tg_split 0
		.amdhsa_exception_fp_ieee_invalid_op 0
		.amdhsa_exception_fp_denorm_src 0
		.amdhsa_exception_fp_ieee_div_zero 0
		.amdhsa_exception_fp_ieee_overflow 0
		.amdhsa_exception_fp_ieee_underflow 0
		.amdhsa_exception_fp_ieee_inexact 0
		.amdhsa_exception_int_div_zero 0
	.end_amdhsa_kernel
	.section	.text._ZN2at6native12cross_kernelIl16OffsetCalculatorILi3EjLb0EElEEviPT_PKS4_S7_T0_T1_S9_S9_,"axG",@progbits,_ZN2at6native12cross_kernelIl16OffsetCalculatorILi3EjLb0EElEEviPT_PKS4_S7_T0_T1_S9_S9_,comdat
.Lfunc_end6:
	.size	_ZN2at6native12cross_kernelIl16OffsetCalculatorILi3EjLb0EElEEviPT_PKS4_S7_T0_T1_S9_S9_, .Lfunc_end6-_ZN2at6native12cross_kernelIl16OffsetCalculatorILi3EjLb0EElEEviPT_PKS4_S7_T0_T1_S9_S9_
                                        ; -- End function
	.set _ZN2at6native12cross_kernelIl16OffsetCalculatorILi3EjLb0EElEEviPT_PKS4_S7_T0_T1_S9_S9_.num_vgpr, 32
	.set _ZN2at6native12cross_kernelIl16OffsetCalculatorILi3EjLb0EElEEviPT_PKS4_S7_T0_T1_S9_S9_.num_agpr, 0
	.set _ZN2at6native12cross_kernelIl16OffsetCalculatorILi3EjLb0EElEEviPT_PKS4_S7_T0_T1_S9_S9_.numbered_sgpr, 78
	.set _ZN2at6native12cross_kernelIl16OffsetCalculatorILi3EjLb0EElEEviPT_PKS4_S7_T0_T1_S9_S9_.num_named_barrier, 0
	.set _ZN2at6native12cross_kernelIl16OffsetCalculatorILi3EjLb0EElEEviPT_PKS4_S7_T0_T1_S9_S9_.private_seg_size, 0
	.set _ZN2at6native12cross_kernelIl16OffsetCalculatorILi3EjLb0EElEEviPT_PKS4_S7_T0_T1_S9_S9_.uses_vcc, 1
	.set _ZN2at6native12cross_kernelIl16OffsetCalculatorILi3EjLb0EElEEviPT_PKS4_S7_T0_T1_S9_S9_.uses_flat_scratch, 0
	.set _ZN2at6native12cross_kernelIl16OffsetCalculatorILi3EjLb0EElEEviPT_PKS4_S7_T0_T1_S9_S9_.has_dyn_sized_stack, 0
	.set _ZN2at6native12cross_kernelIl16OffsetCalculatorILi3EjLb0EElEEviPT_PKS4_S7_T0_T1_S9_S9_.has_recursion, 0
	.set _ZN2at6native12cross_kernelIl16OffsetCalculatorILi3EjLb0EElEEviPT_PKS4_S7_T0_T1_S9_S9_.has_indirect_call, 0
	.section	.AMDGPU.csdata,"",@progbits
; Kernel info:
; codeLenInByte = 1404
; TotalNumSgprs: 84
; NumVgprs: 32
; NumAgprs: 0
; TotalNumVgprs: 32
; ScratchSize: 0
; MemoryBound: 0
; FloatMode: 240
; IeeeMode: 1
; LDSByteSize: 0 bytes/workgroup (compile time only)
; SGPRBlocks: 10
; VGPRBlocks: 3
; NumSGPRsForWavesPerEU: 84
; NumVGPRsForWavesPerEU: 32
; AccumOffset: 32
; Occupancy: 8
; WaveLimiterHint : 1
; COMPUTE_PGM_RSRC2:SCRATCH_EN: 0
; COMPUTE_PGM_RSRC2:USER_SGPR: 2
; COMPUTE_PGM_RSRC2:TRAP_HANDLER: 0
; COMPUTE_PGM_RSRC2:TGID_X_EN: 1
; COMPUTE_PGM_RSRC2:TGID_Y_EN: 0
; COMPUTE_PGM_RSRC2:TGID_Z_EN: 0
; COMPUTE_PGM_RSRC2:TIDIG_COMP_CNT: 0
; COMPUTE_PGM_RSRC3_GFX90A:ACCUM_OFFSET: 7
; COMPUTE_PGM_RSRC3_GFX90A:TG_SPLIT: 0
	.section	.text._ZN2at6native12cross_kernelIl16OffsetCalculatorILi3EjLb0EEiEEviPT_PKS4_S7_T0_T1_S9_S9_,"axG",@progbits,_ZN2at6native12cross_kernelIl16OffsetCalculatorILi3EjLb0EEiEEviPT_PKS4_S7_T0_T1_S9_S9_,comdat
	.protected	_ZN2at6native12cross_kernelIl16OffsetCalculatorILi3EjLb0EEiEEviPT_PKS4_S7_T0_T1_S9_S9_ ; -- Begin function _ZN2at6native12cross_kernelIl16OffsetCalculatorILi3EjLb0EEiEEviPT_PKS4_S7_T0_T1_S9_S9_
	.globl	_ZN2at6native12cross_kernelIl16OffsetCalculatorILi3EjLb0EEiEEviPT_PKS4_S7_T0_T1_S9_S9_
	.p2align	8
	.type	_ZN2at6native12cross_kernelIl16OffsetCalculatorILi3EjLb0EEiEEviPT_PKS4_S7_T0_T1_S9_S9_,@function
_ZN2at6native12cross_kernelIl16OffsetCalculatorILi3EjLb0EEiEEviPT_PKS4_S7_T0_T1_S9_S9_: ; @_ZN2at6native12cross_kernelIl16OffsetCalculatorILi3EjLb0EEiEEviPT_PKS4_S7_T0_T1_S9_S9_
; %bb.0:
	s_load_dword s34, s[0:1], 0x0
	s_load_dword s3, s[0:1], 0x1bc
	v_mov_b32_e32 v1, 0
	v_mov_b32_e32 v2, s2
	s_waitcnt lgkmcnt(0)
	s_ashr_i32 s35, s34, 31
	s_add_u32 s12, s0, 0x1b0
	s_addc_u32 s13, s1, 0
	s_and_b32 s3, s3, 0xffff
	v_mad_u64_u32 v[2:3], s[4:5], s3, v2, v[0:1]
	v_cmp_gt_i64_e32 vcc, s[34:35], v[2:3]
	s_and_saveexec_b64 s[4:5], vcc
	s_cbranch_execz .LBB7_17
; %bb.1:
	s_load_dwordx8 s[4:11], s[0:1], 0x20
	s_load_dwordx4 s[28:31], s[0:1], 0x8
	s_load_dwordx2 s[52:53], s[0:1], 0x18
	s_load_dwordx4 s[36:39], s[0:1], 0x1a4
	s_load_dword s2, s[12:13], 0x0
	s_waitcnt lgkmcnt(0)
	v_sub_co_u32_e64 v0, s[12:13], s4, 1
	s_xor_b64 s[54:55], s[12:13], -1
	s_load_dwordx4 s[40:43], s[0:1], 0xe4
	s_load_dwordx2 s[60:61], s[0:1], 0xf4
	s_add_u32 s56, s0, 36
	v_readfirstlane_b32 s11, v0
	s_addc_u32 s57, s1, 0
	s_min_u32 s12, s11, 15
	s_cmp_gt_u32 s4, 1
	s_cselect_b64 s[62:63], -1, 0
	s_lshl_b32 s66, s38, 1
	s_add_i32 s12, s12, 1
	s_waitcnt lgkmcnt(0)
	s_mov_b32 s11, s41
	s_mov_b32 s4, s9
	s_ashr_i32 s65, s37, 31
	s_mov_b32 s64, s37
	s_ashr_i32 s67, s66, 31
	s_ashr_i32 s37, s36, 31
	s_and_b32 s9, s12, 3
	s_and_b32 s41, s12, 28
	s_cmp_lg_u32 s9, 0
	s_cselect_b64 s[68:69], -1, 0
	s_ashr_i32 s39, s38, 31
	s_lshl_b64 s[70:71], s[64:65], 3
	s_lshl_b64 s[0:1], s[38:39], 3
	s_sub_u32 s72, 0, s0
	s_mov_b32 s59, 0
	s_mov_b32 s33, s42
	s_mul_i32 s58, s2, s3
	s_mov_b64 s[38:39], 0
	s_subb_u32 s73, 0, s1
	s_lshl_b64 s[74:75], s[36:37], 3
	v_cmp_lt_u32_e64 s[0:1], 1, v0
	v_cmp_ne_u32_e64 s[2:3], 2, v0
	s_branch .LBB7_3
.LBB7_2:                                ;   in Loop: Header=BB7_3 Depth=1
	v_mov_b32_e32 v5, v1
	v_mov_b32_e32 v7, v1
	v_lshl_add_u64 v[4:5], v[4:5], 3, s[30:31]
	v_lshl_add_u64 v[6:7], v[6:7], 3, s[52:53]
	;; [unrolled: 1-line block ×4, first 2 shown]
	global_load_dwordx2 v[10:11], v[8:9], off
	global_load_dwordx2 v[14:15], v[12:13], off
	s_nop 0
	global_load_dwordx2 v[4:5], v[4:5], off
	s_nop 0
	global_load_dwordx2 v[6:7], v[6:7], off
	v_lshl_add_u64 v[8:9], v[8:9], 0, s[70:71]
	v_lshl_add_u64 v[12:13], v[12:13], 0, s[72:73]
	global_load_dwordx2 v[8:9], v[8:9], off
	s_nop 0
	global_load_dwordx2 v[12:13], v[12:13], off
	v_lshl_add_u64 v[16:17], v[0:1], 3, s[28:29]
	v_lshl_add_u64 v[2:3], v[2:3], 0, s[58:59]
	v_cmp_le_i64_e32 vcc, s[34:35], v[2:3]
	s_or_b64 s[38:39], vcc, s[38:39]
	v_lshl_add_u64 v[18:19], s[36:37], 3, v[16:17]
	v_lshl_add_u64 v[20:21], v[18:19], 0, s[74:75]
	s_waitcnt vmcnt(3)
	v_mul_lo_u32 v26, v5, v14
	v_mul_lo_u32 v0, v15, v10
	;; [unrolled: 1-line block ×3, first 2 shown]
	v_mad_u64_u32 v[22:23], s[12:13], v14, v10, 0
	v_mul_lo_u32 v27, v4, v15
	v_mad_u64_u32 v[14:15], s[12:13], v4, v14, 0
	s_waitcnt vmcnt(2)
	v_mul_lo_u32 v28, v7, v10
	v_mul_lo_u32 v29, v6, v11
	v_mad_u64_u32 v[10:11], s[12:13], v6, v10, 0
	v_add3_u32 v0, v23, v24, v0
	s_waitcnt vmcnt(0)
	v_mul_lo_u32 v23, v13, v8
	v_mul_lo_u32 v30, v12, v9
	v_mad_u64_u32 v[24:25], s[12:13], v12, v8, 0
	v_mul_lo_u32 v31, v7, v8
	v_mul_lo_u32 v9, v6, v9
	v_mad_u64_u32 v[6:7], s[12:13], v6, v8, 0
	;; [unrolled: 3-line block ×3, first 2 shown]
	v_add3_u32 v12, v25, v30, v23
	v_add3_u32 v5, v5, v13, v8
	v_sub_co_u32_e32 v8, vcc, v22, v24
	v_add3_u32 v7, v7, v9, v31
	s_nop 0
	v_subb_co_u32_e32 v9, vcc, v0, v12, vcc
	v_add3_u32 v15, v15, v27, v26
	v_sub_co_u32_e32 v6, vcc, v6, v14
	v_add3_u32 v11, v11, v29, v28
	s_nop 0
	v_subb_co_u32_e32 v7, vcc, v7, v15, vcc
	v_sub_co_u32_e32 v4, vcc, v4, v10
	s_nop 1
	v_subb_co_u32_e32 v5, vcc, v5, v11, vcc
	global_store_dwordx2 v[16:17], v[8:9], off
	global_store_dwordx2 v[18:19], v[6:7], off
	;; [unrolled: 1-line block ×3, first 2 shown]
	s_andn2_b64 exec, exec, s[38:39]
	s_cbranch_execz .LBB7_17
.LBB7_3:                                ; =>This Loop Header: Depth=1
                                        ;     Child Loop BB7_7 Depth 2
                                        ;     Child Loop BB7_11 Depth 2
	s_andn2_b64 vcc, exec, s[0:1]
	s_mov_b64 s[12:13], -1
                                        ; implicit-def: $vgpr6
                                        ; implicit-def: $vgpr4
	s_cbranch_vccnz .LBB7_14
; %bb.4:                                ;   in Loop: Header=BB7_3 Depth=1
	v_mov_b32_e32 v6, 0
	s_andn2_b64 vcc, exec, s[54:55]
	v_mov_b32_e32 v4, 0
	v_mov_b32_e32 v0, 0
	s_cbranch_vccnz .LBB7_13
; %bb.5:                                ;   in Loop: Header=BB7_3 Depth=1
	s_andn2_b64 vcc, exec, s[2:3]
	s_cbranch_vccnz .LBB7_9
; %bb.6:                                ;   in Loop: Header=BB7_3 Depth=1
	v_mov_b32_e32 v8, 0
	s_mov_b32 s42, 0
	s_mov_b64 s[76:77], s[56:57]
	v_mov_b32_e32 v0, v2
	v_mov_b32_e32 v4, 0
	;; [unrolled: 1-line block ×3, first 2 shown]
.LBB7_7:                                ;   Parent Loop BB7_3 Depth=1
                                        ; =>  This Inner Loop Header: Depth=2
	s_load_dwordx8 s[12:19], s[76:77], 0x0
	s_load_dwordx4 s[44:47], s[76:77], 0x20
	s_load_dwordx4 s[48:51], s[76:77], 0xe0
	s_load_dwordx8 s[20:27], s[76:77], 0xc0
	s_add_i32 s42, s42, 4
	s_waitcnt lgkmcnt(0)
	v_mul_hi_u32 v5, s13, v0
	v_add_u32_e32 v5, v0, v5
	v_lshrrev_b32_e32 v5, s14, v5
	v_mul_lo_u32 v7, v5, s12
	v_mul_hi_u32 v9, s16, v5
	v_sub_u32_e32 v0, v0, v7
	v_add_u32_e32 v7, v5, v9
	v_lshrrev_b32_e32 v7, s17, v7
	v_mul_lo_u32 v11, v7, s15
	v_mul_hi_u32 v12, s19, v7
	v_sub_u32_e32 v5, v5, v11
	v_add_u32_e32 v11, v7, v12
	v_mul_lo_u32 v9, v0, s20
	v_mul_lo_u32 v10, v0, s22
	;; [unrolled: 1-line block ×6, first 2 shown]
	v_lshrrev_b32_e32 v11, s44, v11
	v_add3_u32 v4, v0, v4, v5
	v_add3_u32 v5, v10, v6, v13
	v_mul_lo_u32 v0, v11, s18
	v_mul_hi_u32 v6, s46, v11
	v_sub_u32_e32 v0, v7, v0
	v_add_u32_e32 v6, v11, v6
	v_add3_u32 v8, v9, v8, v12
	v_mul_lo_u32 v7, v0, s26
	v_mul_lo_u32 v9, v0, s27
	v_mul_lo_u32 v10, v0, s48
	v_lshrrev_b32_e32 v0, s47, v6
	v_mul_lo_u32 v6, v0, s45
	s_add_u32 s76, s76, 48
	v_sub_u32_e32 v6, v11, v6
	s_addc_u32 s77, s77, 0
	v_mul_lo_u32 v11, v6, s49
	v_mul_lo_u32 v12, v6, s50
	;; [unrolled: 1-line block ×3, first 2 shown]
	s_cmp_lg_u32 s41, s42
	v_add3_u32 v8, v7, v8, v11
	v_add3_u32 v6, v10, v5, v6
	;; [unrolled: 1-line block ×3, first 2 shown]
	s_cbranch_scc1 .LBB7_7
; %bb.8:                                ;   in Loop: Header=BB7_3 Depth=1
	v_mov_b32_e32 v5, v6
	s_mov_b32 s12, s41
	s_andn2_b64 vcc, exec, s[68:69]
	s_cbranch_vccz .LBB7_10
	s_branch .LBB7_12
.LBB7_9:                                ;   in Loop: Header=BB7_3 Depth=1
	v_mov_b32_e32 v0, v1
	s_mov_b32 s12, 0
	v_mov_b32_e32 v8, 0
                                        ; implicit-def: $vgpr6
	v_mov_b64_e32 v[4:5], v[0:1]
	v_mov_b32_e32 v0, v2
	s_andn2_b64 vcc, exec, s[68:69]
	s_cbranch_vccnz .LBB7_12
.LBB7_10:                               ;   in Loop: Header=BB7_3 Depth=1
	s_mul_i32 s12, s12, 12
	s_add_u32 s12, s56, s12
	s_addc_u32 s13, s57, 0
	s_mov_b32 s14, s9
.LBB7_11:                               ;   Parent Loop BB7_3 Depth=1
                                        ; =>  This Inner Loop Header: Depth=2
	s_load_dwordx2 s[16:17], s[12:13], 0x0
	s_load_dword s15, s[12:13], 0x8
	s_load_dwordx2 s[18:19], s[12:13], 0xc0
	s_load_dword s20, s[12:13], 0xc8
	v_mov_b32_e32 v6, v5
	s_waitcnt lgkmcnt(0)
	v_mul_hi_u32 v5, s17, v0
	v_add_u32_e32 v5, v0, v5
	v_lshrrev_b32_e32 v5, s15, v5
	v_mul_lo_u32 v7, v5, s16
	s_add_u32 s12, s12, 12
	v_sub_u32_e32 v10, v0, v7
	s_addc_u32 s13, s13, 0
	s_add_i32 s14, s14, -1
	v_mov_b32_e32 v0, v5
	v_mad_u64_u32 v[6:7], s[16:17], v10, s20, v[6:7]
	v_mad_u64_u32 v[4:5], s[16:17], v10, s19, v[4:5]
	s_cmp_lg_u32 s14, 0
	v_mad_u64_u32 v[8:9], s[16:17], v10, s18, v[8:9]
	v_mov_b32_e32 v5, v6
	s_cbranch_scc1 .LBB7_11
.LBB7_12:                               ;   in Loop: Header=BB7_3 Depth=1
	v_mov_b32_e32 v0, v8
.LBB7_13:                               ;   in Loop: Header=BB7_3 Depth=1
	s_mov_b64 s[12:13], 0
.LBB7_14:                               ;   in Loop: Header=BB7_3 Depth=1
	s_andn2_b64 vcc, exec, s[12:13]
	s_cbranch_vccnz .LBB7_2
; %bb.15:                               ;   in Loop: Header=BB7_3 Depth=1
	v_mul_lo_u32 v0, v3, s6
	v_mul_hi_u32 v4, v2, s6
	v_add3_u32 v0, v4, v0, v2
	v_lshrrev_b32_e32 v5, s7, v0
	v_mul_lo_u32 v0, v5, s5
	v_sub_u32_e32 v4, v2, v0
	v_mul_lo_u32 v0, v4, s40
	v_mul_lo_u32 v6, v4, s33
	s_andn2_b64 vcc, exec, s[62:63]
	v_mul_lo_u32 v4, v4, s11
	s_cbranch_vccnz .LBB7_2
; %bb.16:                               ;   in Loop: Header=BB7_3 Depth=1
	v_mul_hi_u32 v7, s4, v5
	v_add_u32_e32 v7, v5, v7
	v_lshrrev_b32_e32 v7, s10, v7
	v_mul_lo_u32 v7, v7, s8
	v_sub_u32_e32 v7, v5, v7
	v_mad_u64_u32 v[8:9], s[12:13], v7, s43, v[0:1]
	v_mad_u64_u32 v[4:5], s[12:13], v7, s60, v[4:5]
	;; [unrolled: 1-line block ×3, first 2 shown]
	v_mov_b32_e32 v0, v8
	s_branch .LBB7_2
.LBB7_17:
	s_endpgm
	.section	.rodata,"a",@progbits
	.p2align	6, 0x0
	.amdhsa_kernel _ZN2at6native12cross_kernelIl16OffsetCalculatorILi3EjLb0EEiEEviPT_PKS4_S7_T0_T1_S9_S9_
		.amdhsa_group_segment_fixed_size 0
		.amdhsa_private_segment_fixed_size 0
		.amdhsa_kernarg_size 688
		.amdhsa_user_sgpr_count 2
		.amdhsa_user_sgpr_dispatch_ptr 0
		.amdhsa_user_sgpr_queue_ptr 0
		.amdhsa_user_sgpr_kernarg_segment_ptr 1
		.amdhsa_user_sgpr_dispatch_id 0
		.amdhsa_user_sgpr_kernarg_preload_length 0
		.amdhsa_user_sgpr_kernarg_preload_offset 0
		.amdhsa_user_sgpr_private_segment_size 0
		.amdhsa_uses_dynamic_stack 0
		.amdhsa_enable_private_segment 0
		.amdhsa_system_sgpr_workgroup_id_x 1
		.amdhsa_system_sgpr_workgroup_id_y 0
		.amdhsa_system_sgpr_workgroup_id_z 0
		.amdhsa_system_sgpr_workgroup_info 0
		.amdhsa_system_vgpr_workitem_id 0
		.amdhsa_next_free_vgpr 32
		.amdhsa_next_free_sgpr 78
		.amdhsa_accum_offset 32
		.amdhsa_reserve_vcc 1
		.amdhsa_float_round_mode_32 0
		.amdhsa_float_round_mode_16_64 0
		.amdhsa_float_denorm_mode_32 3
		.amdhsa_float_denorm_mode_16_64 3
		.amdhsa_dx10_clamp 1
		.amdhsa_ieee_mode 1
		.amdhsa_fp16_overflow 0
		.amdhsa_tg_split 0
		.amdhsa_exception_fp_ieee_invalid_op 0
		.amdhsa_exception_fp_denorm_src 0
		.amdhsa_exception_fp_ieee_div_zero 0
		.amdhsa_exception_fp_ieee_overflow 0
		.amdhsa_exception_fp_ieee_underflow 0
		.amdhsa_exception_fp_ieee_inexact 0
		.amdhsa_exception_int_div_zero 0
	.end_amdhsa_kernel
	.section	.text._ZN2at6native12cross_kernelIl16OffsetCalculatorILi3EjLb0EEiEEviPT_PKS4_S7_T0_T1_S9_S9_,"axG",@progbits,_ZN2at6native12cross_kernelIl16OffsetCalculatorILi3EjLb0EEiEEviPT_PKS4_S7_T0_T1_S9_S9_,comdat
.Lfunc_end7:
	.size	_ZN2at6native12cross_kernelIl16OffsetCalculatorILi3EjLb0EEiEEviPT_PKS4_S7_T0_T1_S9_S9_, .Lfunc_end7-_ZN2at6native12cross_kernelIl16OffsetCalculatorILi3EjLb0EEiEEviPT_PKS4_S7_T0_T1_S9_S9_
                                        ; -- End function
	.set _ZN2at6native12cross_kernelIl16OffsetCalculatorILi3EjLb0EEiEEviPT_PKS4_S7_T0_T1_S9_S9_.num_vgpr, 32
	.set _ZN2at6native12cross_kernelIl16OffsetCalculatorILi3EjLb0EEiEEviPT_PKS4_S7_T0_T1_S9_S9_.num_agpr, 0
	.set _ZN2at6native12cross_kernelIl16OffsetCalculatorILi3EjLb0EEiEEviPT_PKS4_S7_T0_T1_S9_S9_.numbered_sgpr, 78
	.set _ZN2at6native12cross_kernelIl16OffsetCalculatorILi3EjLb0EEiEEviPT_PKS4_S7_T0_T1_S9_S9_.num_named_barrier, 0
	.set _ZN2at6native12cross_kernelIl16OffsetCalculatorILi3EjLb0EEiEEviPT_PKS4_S7_T0_T1_S9_S9_.private_seg_size, 0
	.set _ZN2at6native12cross_kernelIl16OffsetCalculatorILi3EjLb0EEiEEviPT_PKS4_S7_T0_T1_S9_S9_.uses_vcc, 1
	.set _ZN2at6native12cross_kernelIl16OffsetCalculatorILi3EjLb0EEiEEviPT_PKS4_S7_T0_T1_S9_S9_.uses_flat_scratch, 0
	.set _ZN2at6native12cross_kernelIl16OffsetCalculatorILi3EjLb0EEiEEviPT_PKS4_S7_T0_T1_S9_S9_.has_dyn_sized_stack, 0
	.set _ZN2at6native12cross_kernelIl16OffsetCalculatorILi3EjLb0EEiEEviPT_PKS4_S7_T0_T1_S9_S9_.has_recursion, 0
	.set _ZN2at6native12cross_kernelIl16OffsetCalculatorILi3EjLb0EEiEEviPT_PKS4_S7_T0_T1_S9_S9_.has_indirect_call, 0
	.section	.AMDGPU.csdata,"",@progbits
; Kernel info:
; codeLenInByte = 1420
; TotalNumSgprs: 84
; NumVgprs: 32
; NumAgprs: 0
; TotalNumVgprs: 32
; ScratchSize: 0
; MemoryBound: 0
; FloatMode: 240
; IeeeMode: 1
; LDSByteSize: 0 bytes/workgroup (compile time only)
; SGPRBlocks: 10
; VGPRBlocks: 3
; NumSGPRsForWavesPerEU: 84
; NumVGPRsForWavesPerEU: 32
; AccumOffset: 32
; Occupancy: 8
; WaveLimiterHint : 1
; COMPUTE_PGM_RSRC2:SCRATCH_EN: 0
; COMPUTE_PGM_RSRC2:USER_SGPR: 2
; COMPUTE_PGM_RSRC2:TRAP_HANDLER: 0
; COMPUTE_PGM_RSRC2:TGID_X_EN: 1
; COMPUTE_PGM_RSRC2:TGID_Y_EN: 0
; COMPUTE_PGM_RSRC2:TGID_Z_EN: 0
; COMPUTE_PGM_RSRC2:TIDIG_COMP_CNT: 0
; COMPUTE_PGM_RSRC3_GFX90A:ACCUM_OFFSET: 7
; COMPUTE_PGM_RSRC3_GFX90A:TG_SPLIT: 0
	.section	.text._ZN2at6native12cross_kernelIs16OffsetCalculatorILi3EjLb0EElEEviPT_PKS4_S7_T0_T1_S9_S9_,"axG",@progbits,_ZN2at6native12cross_kernelIs16OffsetCalculatorILi3EjLb0EElEEviPT_PKS4_S7_T0_T1_S9_S9_,comdat
	.protected	_ZN2at6native12cross_kernelIs16OffsetCalculatorILi3EjLb0EElEEviPT_PKS4_S7_T0_T1_S9_S9_ ; -- Begin function _ZN2at6native12cross_kernelIs16OffsetCalculatorILi3EjLb0EElEEviPT_PKS4_S7_T0_T1_S9_S9_
	.globl	_ZN2at6native12cross_kernelIs16OffsetCalculatorILi3EjLb0EElEEviPT_PKS4_S7_T0_T1_S9_S9_
	.p2align	8
	.type	_ZN2at6native12cross_kernelIs16OffsetCalculatorILi3EjLb0EElEEviPT_PKS4_S7_T0_T1_S9_S9_,@function
_ZN2at6native12cross_kernelIs16OffsetCalculatorILi3EjLb0EElEEviPT_PKS4_S7_T0_T1_S9_S9_: ; @_ZN2at6native12cross_kernelIs16OffsetCalculatorILi3EjLb0EElEEviPT_PKS4_S7_T0_T1_S9_S9_
; %bb.0:
	s_load_dword s34, s[0:1], 0x0
	s_load_dword s3, s[0:1], 0x1cc
	v_mov_b32_e32 v1, 0
	v_mov_b32_e32 v2, s2
	s_waitcnt lgkmcnt(0)
	s_ashr_i32 s35, s34, 31
	s_add_u32 s12, s0, 0x1c0
	s_addc_u32 s13, s1, 0
	s_and_b32 s3, s3, 0xffff
	v_mad_u64_u32 v[2:3], s[4:5], s3, v2, v[0:1]
	v_cmp_gt_i64_e32 vcc, s[34:35], v[2:3]
	s_and_saveexec_b64 s[4:5], vcc
	s_cbranch_execz .LBB8_17
; %bb.1:
	s_load_dwordx4 s[28:31], s[0:1], 0x8
	s_load_dwordx2 s[52:53], s[0:1], 0x18
	s_load_dwordx8 s[4:11], s[0:1], 0x20
	s_load_dwordx2 s[14:15], s[0:1], 0x1b8
	s_load_dwordx4 s[36:39], s[0:1], 0x1a8
	s_load_dword s2, s[12:13], 0x0
	s_load_dwordx4 s[40:43], s[0:1], 0xe4
	s_load_dwordx2 s[60:61], s[0:1], 0xf4
	s_waitcnt lgkmcnt(0)
	v_sub_co_u32_e64 v0, s[12:13], s4, 1
	s_xor_b64 s[54:55], s[12:13], -1
	s_add_u32 s56, s0, 36
	v_readfirstlane_b32 s11, v0
	s_addc_u32 s57, s1, 0
	s_min_u32 s12, s11, 15
	s_cmp_gt_u32 s4, 1
	s_cselect_b64 s[62:63], -1, 0
	s_add_i32 s12, s12, 1
	s_mov_b32 s11, s41
	s_mov_b32 s4, s9
	s_lshl_b64 s[64:65], s[14:15], 2
	s_and_b32 s9, s12, 3
	s_and_b32 s41, s12, 28
	s_cmp_lg_u32 s9, 0
	s_cselect_b64 s[66:67], -1, 0
	s_lshl_b64 s[68:69], s[38:39], 1
	s_lshl_b64 s[0:1], s[14:15], 1
	s_sub_u32 s72, 0, s0
	s_mov_b32 s59, 0
	s_mov_b32 s33, s42
	s_mul_i32 s58, s2, s3
	s_mov_b64 s[70:71], 0
	s_subb_u32 s73, 0, s1
	s_lshl_b64 s[74:75], s[36:37], 1
	v_cmp_lt_u32_e64 s[0:1], 1, v0
	v_cmp_ne_u32_e64 s[2:3], 2, v0
	s_branch .LBB8_3
.LBB8_2:                                ;   in Loop: Header=BB8_3 Depth=1
	v_mov_b32_e32 v5, v1
	v_lshl_add_u64 v[4:5], v[4:5], 1, s[30:31]
	v_mov_b32_e32 v7, v1
	v_lshl_add_u64 v[6:7], v[6:7], 1, s[52:53]
	v_lshl_add_u64 v[8:9], s[38:39], 1, v[4:5]
	global_load_ushort v12, v[8:9], off
	v_lshl_add_u64 v[10:11], v[6:7], 0, s[64:65]
	v_lshl_add_u64 v[8:9], v[8:9], 0, s[68:69]
	global_load_ushort v13, v[10:11], off
	global_load_ushort v14, v[8:9], off
	v_lshl_add_u64 v[8:9], v[10:11], 0, s[72:73]
	global_load_ushort v10, v[4:5], off
	global_load_ushort v11, v[6:7], off
	;; [unrolled: 1-line block ×3, first 2 shown]
	v_lshl_add_u64 v[2:3], v[2:3], 0, s[58:59]
	v_lshl_add_u64 v[4:5], v[0:1], 1, s[28:29]
	v_cmp_le_i64_e32 vcc, s[34:35], v[2:3]
	v_lshl_add_u64 v[6:7], s[36:37], 1, v[4:5]
	s_or_b64 s[70:71], vcc, s[70:71]
	v_lshl_add_u64 v[8:9], v[6:7], 0, s[74:75]
	s_waitcnt vmcnt(4)
	v_mul_lo_u16_e32 v0, v13, v12
	s_waitcnt vmcnt(2)
	v_mul_lo_u16_e32 v13, v10, v13
	s_waitcnt vmcnt(1)
	v_mul_lo_u16_e32 v12, v11, v12
	s_waitcnt vmcnt(0)
	v_mul_lo_u16_e32 v16, v15, v14
	v_mul_lo_u16_e32 v11, v11, v14
	v_mul_lo_u16_e32 v10, v10, v15
	v_sub_u16_e32 v0, v0, v16
	v_sub_u16_e32 v11, v11, v13
	v_sub_u16_e32 v10, v10, v12
	global_store_short v[4:5], v0, off
	global_store_short v[6:7], v11, off
	;; [unrolled: 1-line block ×3, first 2 shown]
	s_andn2_b64 exec, exec, s[70:71]
	s_cbranch_execz .LBB8_17
.LBB8_3:                                ; =>This Loop Header: Depth=1
                                        ;     Child Loop BB8_7 Depth 2
                                        ;     Child Loop BB8_11 Depth 2
	s_andn2_b64 vcc, exec, s[0:1]
	s_mov_b64 s[12:13], -1
                                        ; implicit-def: $vgpr6
                                        ; implicit-def: $vgpr4
	s_cbranch_vccnz .LBB8_14
; %bb.4:                                ;   in Loop: Header=BB8_3 Depth=1
	v_mov_b32_e32 v6, 0
	s_andn2_b64 vcc, exec, s[54:55]
	v_mov_b32_e32 v4, 0
	v_mov_b32_e32 v0, 0
	s_cbranch_vccnz .LBB8_13
; %bb.5:                                ;   in Loop: Header=BB8_3 Depth=1
	s_andn2_b64 vcc, exec, s[2:3]
	s_cbranch_vccnz .LBB8_9
; %bb.6:                                ;   in Loop: Header=BB8_3 Depth=1
	v_mov_b32_e32 v8, 0
	s_mov_b32 s42, 0
	s_mov_b64 s[76:77], s[56:57]
	v_mov_b32_e32 v0, v2
	v_mov_b32_e32 v4, 0
	;; [unrolled: 1-line block ×3, first 2 shown]
.LBB8_7:                                ;   Parent Loop BB8_3 Depth=1
                                        ; =>  This Inner Loop Header: Depth=2
	s_load_dwordx8 s[12:19], s[76:77], 0x0
	s_load_dwordx4 s[44:47], s[76:77], 0x20
	s_load_dwordx4 s[48:51], s[76:77], 0xe0
	s_load_dwordx8 s[20:27], s[76:77], 0xc0
	s_add_i32 s42, s42, 4
	s_waitcnt lgkmcnt(0)
	v_mul_hi_u32 v5, s13, v0
	v_add_u32_e32 v5, v0, v5
	v_lshrrev_b32_e32 v5, s14, v5
	v_mul_lo_u32 v7, v5, s12
	v_mul_hi_u32 v9, s16, v5
	v_sub_u32_e32 v0, v0, v7
	v_add_u32_e32 v7, v5, v9
	v_lshrrev_b32_e32 v7, s17, v7
	v_mul_lo_u32 v11, v7, s15
	v_mul_hi_u32 v12, s19, v7
	v_sub_u32_e32 v5, v5, v11
	v_add_u32_e32 v11, v7, v12
	v_mul_lo_u32 v9, v0, s20
	v_mul_lo_u32 v10, v0, s22
	;; [unrolled: 1-line block ×6, first 2 shown]
	v_lshrrev_b32_e32 v11, s44, v11
	v_add3_u32 v4, v0, v4, v5
	v_add3_u32 v5, v10, v6, v13
	v_mul_lo_u32 v0, v11, s18
	v_mul_hi_u32 v6, s46, v11
	v_sub_u32_e32 v0, v7, v0
	v_add_u32_e32 v6, v11, v6
	v_add3_u32 v8, v9, v8, v12
	v_mul_lo_u32 v7, v0, s26
	v_mul_lo_u32 v9, v0, s27
	;; [unrolled: 1-line block ×3, first 2 shown]
	v_lshrrev_b32_e32 v0, s47, v6
	v_mul_lo_u32 v6, v0, s45
	s_add_u32 s76, s76, 48
	v_sub_u32_e32 v6, v11, v6
	s_addc_u32 s77, s77, 0
	v_mul_lo_u32 v11, v6, s49
	v_mul_lo_u32 v12, v6, s50
	;; [unrolled: 1-line block ×3, first 2 shown]
	s_cmp_lg_u32 s41, s42
	v_add3_u32 v8, v7, v8, v11
	v_add3_u32 v6, v10, v5, v6
	v_add3_u32 v4, v9, v4, v12
	s_cbranch_scc1 .LBB8_7
; %bb.8:                                ;   in Loop: Header=BB8_3 Depth=1
	v_mov_b32_e32 v5, v6
	s_mov_b32 s12, s41
	s_andn2_b64 vcc, exec, s[66:67]
	s_cbranch_vccz .LBB8_10
	s_branch .LBB8_12
.LBB8_9:                                ;   in Loop: Header=BB8_3 Depth=1
	v_mov_b32_e32 v0, v1
	s_mov_b32 s12, 0
	v_mov_b32_e32 v8, 0
                                        ; implicit-def: $vgpr6
	v_mov_b64_e32 v[4:5], v[0:1]
	v_mov_b32_e32 v0, v2
	s_andn2_b64 vcc, exec, s[66:67]
	s_cbranch_vccnz .LBB8_12
.LBB8_10:                               ;   in Loop: Header=BB8_3 Depth=1
	s_mul_i32 s12, s12, 12
	s_add_u32 s12, s56, s12
	s_addc_u32 s13, s57, 0
	s_mov_b32 s14, s9
.LBB8_11:                               ;   Parent Loop BB8_3 Depth=1
                                        ; =>  This Inner Loop Header: Depth=2
	s_load_dwordx2 s[16:17], s[12:13], 0x0
	s_load_dword s15, s[12:13], 0x8
	s_load_dwordx2 s[18:19], s[12:13], 0xc0
	s_load_dword s20, s[12:13], 0xc8
	v_mov_b32_e32 v6, v5
	s_waitcnt lgkmcnt(0)
	v_mul_hi_u32 v5, s17, v0
	v_add_u32_e32 v5, v0, v5
	v_lshrrev_b32_e32 v5, s15, v5
	v_mul_lo_u32 v7, v5, s16
	s_add_u32 s12, s12, 12
	v_sub_u32_e32 v10, v0, v7
	s_addc_u32 s13, s13, 0
	s_add_i32 s14, s14, -1
	v_mov_b32_e32 v0, v5
	v_mad_u64_u32 v[6:7], s[16:17], v10, s20, v[6:7]
	v_mad_u64_u32 v[4:5], s[16:17], v10, s19, v[4:5]
	s_cmp_lg_u32 s14, 0
	v_mad_u64_u32 v[8:9], s[16:17], v10, s18, v[8:9]
	v_mov_b32_e32 v5, v6
	s_cbranch_scc1 .LBB8_11
.LBB8_12:                               ;   in Loop: Header=BB8_3 Depth=1
	v_mov_b32_e32 v0, v8
.LBB8_13:                               ;   in Loop: Header=BB8_3 Depth=1
	s_mov_b64 s[12:13], 0
.LBB8_14:                               ;   in Loop: Header=BB8_3 Depth=1
	s_andn2_b64 vcc, exec, s[12:13]
	s_cbranch_vccnz .LBB8_2
; %bb.15:                               ;   in Loop: Header=BB8_3 Depth=1
	v_mul_lo_u32 v0, v3, s6
	v_mul_hi_u32 v4, v2, s6
	v_add3_u32 v0, v4, v0, v2
	v_lshrrev_b32_e32 v5, s7, v0
	v_mul_lo_u32 v0, v5, s5
	v_sub_u32_e32 v4, v2, v0
	v_mul_lo_u32 v0, v4, s40
	v_mul_lo_u32 v6, v4, s33
	s_andn2_b64 vcc, exec, s[62:63]
	v_mul_lo_u32 v4, v4, s11
	s_cbranch_vccnz .LBB8_2
; %bb.16:                               ;   in Loop: Header=BB8_3 Depth=1
	v_mul_hi_u32 v7, s4, v5
	v_add_u32_e32 v7, v5, v7
	v_lshrrev_b32_e32 v7, s10, v7
	v_mul_lo_u32 v7, v7, s8
	v_sub_u32_e32 v7, v5, v7
	v_mad_u64_u32 v[8:9], s[12:13], v7, s43, v[0:1]
	v_mad_u64_u32 v[4:5], s[12:13], v7, s60, v[4:5]
	;; [unrolled: 1-line block ×3, first 2 shown]
	v_mov_b32_e32 v0, v8
	s_branch .LBB8_2
.LBB8_17:
	s_endpgm
	.section	.rodata,"a",@progbits
	.p2align	6, 0x0
	.amdhsa_kernel _ZN2at6native12cross_kernelIs16OffsetCalculatorILi3EjLb0EElEEviPT_PKS4_S7_T0_T1_S9_S9_
		.amdhsa_group_segment_fixed_size 0
		.amdhsa_private_segment_fixed_size 0
		.amdhsa_kernarg_size 704
		.amdhsa_user_sgpr_count 2
		.amdhsa_user_sgpr_dispatch_ptr 0
		.amdhsa_user_sgpr_queue_ptr 0
		.amdhsa_user_sgpr_kernarg_segment_ptr 1
		.amdhsa_user_sgpr_dispatch_id 0
		.amdhsa_user_sgpr_kernarg_preload_length 0
		.amdhsa_user_sgpr_kernarg_preload_offset 0
		.amdhsa_user_sgpr_private_segment_size 0
		.amdhsa_uses_dynamic_stack 0
		.amdhsa_enable_private_segment 0
		.amdhsa_system_sgpr_workgroup_id_x 1
		.amdhsa_system_sgpr_workgroup_id_y 0
		.amdhsa_system_sgpr_workgroup_id_z 0
		.amdhsa_system_sgpr_workgroup_info 0
		.amdhsa_system_vgpr_workitem_id 0
		.amdhsa_next_free_vgpr 17
		.amdhsa_next_free_sgpr 78
		.amdhsa_accum_offset 20
		.amdhsa_reserve_vcc 1
		.amdhsa_float_round_mode_32 0
		.amdhsa_float_round_mode_16_64 0
		.amdhsa_float_denorm_mode_32 3
		.amdhsa_float_denorm_mode_16_64 3
		.amdhsa_dx10_clamp 1
		.amdhsa_ieee_mode 1
		.amdhsa_fp16_overflow 0
		.amdhsa_tg_split 0
		.amdhsa_exception_fp_ieee_invalid_op 0
		.amdhsa_exception_fp_denorm_src 0
		.amdhsa_exception_fp_ieee_div_zero 0
		.amdhsa_exception_fp_ieee_overflow 0
		.amdhsa_exception_fp_ieee_underflow 0
		.amdhsa_exception_fp_ieee_inexact 0
		.amdhsa_exception_int_div_zero 0
	.end_amdhsa_kernel
	.section	.text._ZN2at6native12cross_kernelIs16OffsetCalculatorILi3EjLb0EElEEviPT_PKS4_S7_T0_T1_S9_S9_,"axG",@progbits,_ZN2at6native12cross_kernelIs16OffsetCalculatorILi3EjLb0EElEEviPT_PKS4_S7_T0_T1_S9_S9_,comdat
.Lfunc_end8:
	.size	_ZN2at6native12cross_kernelIs16OffsetCalculatorILi3EjLb0EElEEviPT_PKS4_S7_T0_T1_S9_S9_, .Lfunc_end8-_ZN2at6native12cross_kernelIs16OffsetCalculatorILi3EjLb0EElEEviPT_PKS4_S7_T0_T1_S9_S9_
                                        ; -- End function
	.set _ZN2at6native12cross_kernelIs16OffsetCalculatorILi3EjLb0EElEEviPT_PKS4_S7_T0_T1_S9_S9_.num_vgpr, 17
	.set _ZN2at6native12cross_kernelIs16OffsetCalculatorILi3EjLb0EElEEviPT_PKS4_S7_T0_T1_S9_S9_.num_agpr, 0
	.set _ZN2at6native12cross_kernelIs16OffsetCalculatorILi3EjLb0EElEEviPT_PKS4_S7_T0_T1_S9_S9_.numbered_sgpr, 78
	.set _ZN2at6native12cross_kernelIs16OffsetCalculatorILi3EjLb0EElEEviPT_PKS4_S7_T0_T1_S9_S9_.num_named_barrier, 0
	.set _ZN2at6native12cross_kernelIs16OffsetCalculatorILi3EjLb0EElEEviPT_PKS4_S7_T0_T1_S9_S9_.private_seg_size, 0
	.set _ZN2at6native12cross_kernelIs16OffsetCalculatorILi3EjLb0EElEEviPT_PKS4_S7_T0_T1_S9_S9_.uses_vcc, 1
	.set _ZN2at6native12cross_kernelIs16OffsetCalculatorILi3EjLb0EElEEviPT_PKS4_S7_T0_T1_S9_S9_.uses_flat_scratch, 0
	.set _ZN2at6native12cross_kernelIs16OffsetCalculatorILi3EjLb0EElEEviPT_PKS4_S7_T0_T1_S9_S9_.has_dyn_sized_stack, 0
	.set _ZN2at6native12cross_kernelIs16OffsetCalculatorILi3EjLb0EElEEviPT_PKS4_S7_T0_T1_S9_S9_.has_recursion, 0
	.set _ZN2at6native12cross_kernelIs16OffsetCalculatorILi3EjLb0EElEEviPT_PKS4_S7_T0_T1_S9_S9_.has_indirect_call, 0
	.section	.AMDGPU.csdata,"",@progbits
; Kernel info:
; codeLenInByte = 1204
; TotalNumSgprs: 84
; NumVgprs: 17
; NumAgprs: 0
; TotalNumVgprs: 17
; ScratchSize: 0
; MemoryBound: 0
; FloatMode: 240
; IeeeMode: 1
; LDSByteSize: 0 bytes/workgroup (compile time only)
; SGPRBlocks: 10
; VGPRBlocks: 2
; NumSGPRsForWavesPerEU: 84
; NumVGPRsForWavesPerEU: 17
; AccumOffset: 20
; Occupancy: 8
; WaveLimiterHint : 1
; COMPUTE_PGM_RSRC2:SCRATCH_EN: 0
; COMPUTE_PGM_RSRC2:USER_SGPR: 2
; COMPUTE_PGM_RSRC2:TRAP_HANDLER: 0
; COMPUTE_PGM_RSRC2:TGID_X_EN: 1
; COMPUTE_PGM_RSRC2:TGID_Y_EN: 0
; COMPUTE_PGM_RSRC2:TGID_Z_EN: 0
; COMPUTE_PGM_RSRC2:TIDIG_COMP_CNT: 0
; COMPUTE_PGM_RSRC3_GFX90A:ACCUM_OFFSET: 4
; COMPUTE_PGM_RSRC3_GFX90A:TG_SPLIT: 0
	.section	.text._ZN2at6native12cross_kernelIs16OffsetCalculatorILi3EjLb0EEiEEviPT_PKS4_S7_T0_T1_S9_S9_,"axG",@progbits,_ZN2at6native12cross_kernelIs16OffsetCalculatorILi3EjLb0EEiEEviPT_PKS4_S7_T0_T1_S9_S9_,comdat
	.protected	_ZN2at6native12cross_kernelIs16OffsetCalculatorILi3EjLb0EEiEEviPT_PKS4_S7_T0_T1_S9_S9_ ; -- Begin function _ZN2at6native12cross_kernelIs16OffsetCalculatorILi3EjLb0EEiEEviPT_PKS4_S7_T0_T1_S9_S9_
	.globl	_ZN2at6native12cross_kernelIs16OffsetCalculatorILi3EjLb0EEiEEviPT_PKS4_S7_T0_T1_S9_S9_
	.p2align	8
	.type	_ZN2at6native12cross_kernelIs16OffsetCalculatorILi3EjLb0EEiEEviPT_PKS4_S7_T0_T1_S9_S9_,@function
_ZN2at6native12cross_kernelIs16OffsetCalculatorILi3EjLb0EEiEEviPT_PKS4_S7_T0_T1_S9_S9_: ; @_ZN2at6native12cross_kernelIs16OffsetCalculatorILi3EjLb0EEiEEviPT_PKS4_S7_T0_T1_S9_S9_
; %bb.0:
	s_load_dword s34, s[0:1], 0x0
	s_load_dword s3, s[0:1], 0x1bc
	v_mov_b32_e32 v1, 0
	v_mov_b32_e32 v2, s2
	s_waitcnt lgkmcnt(0)
	s_ashr_i32 s35, s34, 31
	s_add_u32 s12, s0, 0x1b0
	s_addc_u32 s13, s1, 0
	s_and_b32 s3, s3, 0xffff
	v_mad_u64_u32 v[2:3], s[4:5], s3, v2, v[0:1]
	v_cmp_gt_i64_e32 vcc, s[34:35], v[2:3]
	s_and_saveexec_b64 s[4:5], vcc
	s_cbranch_execz .LBB9_17
; %bb.1:
	s_load_dwordx8 s[4:11], s[0:1], 0x20
	s_load_dwordx4 s[28:31], s[0:1], 0x8
	s_load_dwordx2 s[52:53], s[0:1], 0x18
	s_load_dwordx4 s[36:39], s[0:1], 0x1a4
	s_load_dword s2, s[12:13], 0x0
	s_waitcnt lgkmcnt(0)
	v_sub_co_u32_e64 v0, s[12:13], s4, 1
	s_xor_b64 s[54:55], s[12:13], -1
	s_load_dwordx4 s[40:43], s[0:1], 0xe4
	s_load_dwordx2 s[60:61], s[0:1], 0xf4
	s_add_u32 s56, s0, 36
	v_readfirstlane_b32 s11, v0
	s_addc_u32 s57, s1, 0
	s_min_u32 s12, s11, 15
	s_cmp_gt_u32 s4, 1
	s_cselect_b64 s[62:63], -1, 0
	s_lshl_b32 s66, s38, 1
	s_add_i32 s12, s12, 1
	s_waitcnt lgkmcnt(0)
	s_mov_b32 s11, s41
	s_mov_b32 s4, s9
	s_ashr_i32 s65, s37, 31
	s_mov_b32 s64, s37
	s_ashr_i32 s67, s66, 31
	s_ashr_i32 s37, s36, 31
	s_and_b32 s9, s12, 3
	s_and_b32 s41, s12, 28
	s_cmp_lg_u32 s9, 0
	s_cselect_b64 s[68:69], -1, 0
	s_ashr_i32 s39, s38, 31
	s_lshl_b64 s[70:71], s[64:65], 1
	s_lshl_b64 s[0:1], s[38:39], 1
	s_sub_u32 s72, 0, s0
	s_mov_b32 s59, 0
	s_mov_b32 s33, s42
	s_mul_i32 s58, s2, s3
	s_mov_b64 s[38:39], 0
	s_subb_u32 s73, 0, s1
	s_lshl_b64 s[74:75], s[36:37], 1
	v_cmp_lt_u32_e64 s[0:1], 1, v0
	v_cmp_ne_u32_e64 s[2:3], 2, v0
	s_branch .LBB9_3
.LBB9_2:                                ;   in Loop: Header=BB9_3 Depth=1
	v_mov_b32_e32 v5, v1
	v_lshl_add_u64 v[4:5], v[4:5], 1, s[30:31]
	v_mov_b32_e32 v7, v1
	v_lshl_add_u64 v[6:7], v[6:7], 1, s[52:53]
	v_lshl_add_u64 v[8:9], s[64:65], 1, v[4:5]
	global_load_ushort v12, v[8:9], off
	v_lshl_add_u64 v[10:11], s[66:67], 1, v[6:7]
	v_lshl_add_u64 v[8:9], v[8:9], 0, s[70:71]
	global_load_ushort v13, v[10:11], off
	global_load_ushort v14, v[8:9], off
	v_lshl_add_u64 v[8:9], v[10:11], 0, s[72:73]
	global_load_ushort v10, v[4:5], off
	global_load_ushort v11, v[6:7], off
	;; [unrolled: 1-line block ×3, first 2 shown]
	v_lshl_add_u64 v[2:3], v[2:3], 0, s[58:59]
	v_lshl_add_u64 v[4:5], v[0:1], 1, s[28:29]
	v_cmp_le_i64_e32 vcc, s[34:35], v[2:3]
	v_lshl_add_u64 v[6:7], s[36:37], 1, v[4:5]
	s_or_b64 s[38:39], vcc, s[38:39]
	v_lshl_add_u64 v[8:9], v[6:7], 0, s[74:75]
	s_waitcnt vmcnt(4)
	v_mul_lo_u16_e32 v0, v13, v12
	s_waitcnt vmcnt(2)
	v_mul_lo_u16_e32 v13, v10, v13
	;; [unrolled: 2-line block ×4, first 2 shown]
	v_mul_lo_u16_e32 v11, v11, v14
	v_mul_lo_u16_e32 v10, v10, v15
	v_sub_u16_e32 v0, v0, v16
	v_sub_u16_e32 v11, v11, v13
	;; [unrolled: 1-line block ×3, first 2 shown]
	global_store_short v[4:5], v0, off
	global_store_short v[6:7], v11, off
	;; [unrolled: 1-line block ×3, first 2 shown]
	s_andn2_b64 exec, exec, s[38:39]
	s_cbranch_execz .LBB9_17
.LBB9_3:                                ; =>This Loop Header: Depth=1
                                        ;     Child Loop BB9_7 Depth 2
                                        ;     Child Loop BB9_11 Depth 2
	s_andn2_b64 vcc, exec, s[0:1]
	s_mov_b64 s[12:13], -1
                                        ; implicit-def: $vgpr6
                                        ; implicit-def: $vgpr4
	s_cbranch_vccnz .LBB9_14
; %bb.4:                                ;   in Loop: Header=BB9_3 Depth=1
	v_mov_b32_e32 v6, 0
	s_andn2_b64 vcc, exec, s[54:55]
	v_mov_b32_e32 v4, 0
	v_mov_b32_e32 v0, 0
	s_cbranch_vccnz .LBB9_13
; %bb.5:                                ;   in Loop: Header=BB9_3 Depth=1
	s_andn2_b64 vcc, exec, s[2:3]
	s_cbranch_vccnz .LBB9_9
; %bb.6:                                ;   in Loop: Header=BB9_3 Depth=1
	v_mov_b32_e32 v8, 0
	s_mov_b32 s42, 0
	s_mov_b64 s[76:77], s[56:57]
	v_mov_b32_e32 v0, v2
	v_mov_b32_e32 v4, 0
	v_mov_b32_e32 v6, 0
.LBB9_7:                                ;   Parent Loop BB9_3 Depth=1
                                        ; =>  This Inner Loop Header: Depth=2
	s_load_dwordx8 s[12:19], s[76:77], 0x0
	s_load_dwordx4 s[44:47], s[76:77], 0x20
	s_load_dwordx4 s[48:51], s[76:77], 0xe0
	s_load_dwordx8 s[20:27], s[76:77], 0xc0
	s_add_i32 s42, s42, 4
	s_waitcnt lgkmcnt(0)
	v_mul_hi_u32 v5, s13, v0
	v_add_u32_e32 v5, v0, v5
	v_lshrrev_b32_e32 v5, s14, v5
	v_mul_lo_u32 v7, v5, s12
	v_mul_hi_u32 v9, s16, v5
	v_sub_u32_e32 v0, v0, v7
	v_add_u32_e32 v7, v5, v9
	v_lshrrev_b32_e32 v7, s17, v7
	v_mul_lo_u32 v11, v7, s15
	v_mul_hi_u32 v12, s19, v7
	v_sub_u32_e32 v5, v5, v11
	v_add_u32_e32 v11, v7, v12
	v_mul_lo_u32 v9, v0, s20
	v_mul_lo_u32 v10, v0, s22
	;; [unrolled: 1-line block ×6, first 2 shown]
	v_lshrrev_b32_e32 v11, s44, v11
	v_add3_u32 v4, v0, v4, v5
	v_add3_u32 v5, v10, v6, v13
	v_mul_lo_u32 v0, v11, s18
	v_mul_hi_u32 v6, s46, v11
	v_sub_u32_e32 v0, v7, v0
	v_add_u32_e32 v6, v11, v6
	v_add3_u32 v8, v9, v8, v12
	v_mul_lo_u32 v7, v0, s26
	v_mul_lo_u32 v9, v0, s27
	;; [unrolled: 1-line block ×3, first 2 shown]
	v_lshrrev_b32_e32 v0, s47, v6
	v_mul_lo_u32 v6, v0, s45
	s_add_u32 s76, s76, 48
	v_sub_u32_e32 v6, v11, v6
	s_addc_u32 s77, s77, 0
	v_mul_lo_u32 v11, v6, s49
	v_mul_lo_u32 v12, v6, s50
	;; [unrolled: 1-line block ×3, first 2 shown]
	s_cmp_lg_u32 s41, s42
	v_add3_u32 v8, v7, v8, v11
	v_add3_u32 v6, v10, v5, v6
	;; [unrolled: 1-line block ×3, first 2 shown]
	s_cbranch_scc1 .LBB9_7
; %bb.8:                                ;   in Loop: Header=BB9_3 Depth=1
	v_mov_b32_e32 v5, v6
	s_mov_b32 s12, s41
	s_andn2_b64 vcc, exec, s[68:69]
	s_cbranch_vccz .LBB9_10
	s_branch .LBB9_12
.LBB9_9:                                ;   in Loop: Header=BB9_3 Depth=1
	v_mov_b32_e32 v0, v1
	s_mov_b32 s12, 0
	v_mov_b32_e32 v8, 0
                                        ; implicit-def: $vgpr6
	v_mov_b64_e32 v[4:5], v[0:1]
	v_mov_b32_e32 v0, v2
	s_andn2_b64 vcc, exec, s[68:69]
	s_cbranch_vccnz .LBB9_12
.LBB9_10:                               ;   in Loop: Header=BB9_3 Depth=1
	s_mul_i32 s12, s12, 12
	s_add_u32 s12, s56, s12
	s_addc_u32 s13, s57, 0
	s_mov_b32 s14, s9
.LBB9_11:                               ;   Parent Loop BB9_3 Depth=1
                                        ; =>  This Inner Loop Header: Depth=2
	s_load_dwordx2 s[16:17], s[12:13], 0x0
	s_load_dword s15, s[12:13], 0x8
	s_load_dwordx2 s[18:19], s[12:13], 0xc0
	s_load_dword s20, s[12:13], 0xc8
	v_mov_b32_e32 v6, v5
	s_waitcnt lgkmcnt(0)
	v_mul_hi_u32 v5, s17, v0
	v_add_u32_e32 v5, v0, v5
	v_lshrrev_b32_e32 v5, s15, v5
	v_mul_lo_u32 v7, v5, s16
	s_add_u32 s12, s12, 12
	v_sub_u32_e32 v10, v0, v7
	s_addc_u32 s13, s13, 0
	s_add_i32 s14, s14, -1
	v_mov_b32_e32 v0, v5
	v_mad_u64_u32 v[6:7], s[16:17], v10, s20, v[6:7]
	v_mad_u64_u32 v[4:5], s[16:17], v10, s19, v[4:5]
	s_cmp_lg_u32 s14, 0
	v_mad_u64_u32 v[8:9], s[16:17], v10, s18, v[8:9]
	v_mov_b32_e32 v5, v6
	s_cbranch_scc1 .LBB9_11
.LBB9_12:                               ;   in Loop: Header=BB9_3 Depth=1
	v_mov_b32_e32 v0, v8
.LBB9_13:                               ;   in Loop: Header=BB9_3 Depth=1
	s_mov_b64 s[12:13], 0
.LBB9_14:                               ;   in Loop: Header=BB9_3 Depth=1
	s_andn2_b64 vcc, exec, s[12:13]
	s_cbranch_vccnz .LBB9_2
; %bb.15:                               ;   in Loop: Header=BB9_3 Depth=1
	v_mul_lo_u32 v0, v3, s6
	v_mul_hi_u32 v4, v2, s6
	v_add3_u32 v0, v4, v0, v2
	v_lshrrev_b32_e32 v5, s7, v0
	v_mul_lo_u32 v0, v5, s5
	v_sub_u32_e32 v4, v2, v0
	v_mul_lo_u32 v0, v4, s40
	v_mul_lo_u32 v6, v4, s33
	s_andn2_b64 vcc, exec, s[62:63]
	v_mul_lo_u32 v4, v4, s11
	s_cbranch_vccnz .LBB9_2
; %bb.16:                               ;   in Loop: Header=BB9_3 Depth=1
	v_mul_hi_u32 v7, s4, v5
	v_add_u32_e32 v7, v5, v7
	v_lshrrev_b32_e32 v7, s10, v7
	v_mul_lo_u32 v7, v7, s8
	v_sub_u32_e32 v7, v5, v7
	v_mad_u64_u32 v[8:9], s[12:13], v7, s43, v[0:1]
	v_mad_u64_u32 v[4:5], s[12:13], v7, s60, v[4:5]
	;; [unrolled: 1-line block ×3, first 2 shown]
	v_mov_b32_e32 v0, v8
	s_branch .LBB9_2
.LBB9_17:
	s_endpgm
	.section	.rodata,"a",@progbits
	.p2align	6, 0x0
	.amdhsa_kernel _ZN2at6native12cross_kernelIs16OffsetCalculatorILi3EjLb0EEiEEviPT_PKS4_S7_T0_T1_S9_S9_
		.amdhsa_group_segment_fixed_size 0
		.amdhsa_private_segment_fixed_size 0
		.amdhsa_kernarg_size 688
		.amdhsa_user_sgpr_count 2
		.amdhsa_user_sgpr_dispatch_ptr 0
		.amdhsa_user_sgpr_queue_ptr 0
		.amdhsa_user_sgpr_kernarg_segment_ptr 1
		.amdhsa_user_sgpr_dispatch_id 0
		.amdhsa_user_sgpr_kernarg_preload_length 0
		.amdhsa_user_sgpr_kernarg_preload_offset 0
		.amdhsa_user_sgpr_private_segment_size 0
		.amdhsa_uses_dynamic_stack 0
		.amdhsa_enable_private_segment 0
		.amdhsa_system_sgpr_workgroup_id_x 1
		.amdhsa_system_sgpr_workgroup_id_y 0
		.amdhsa_system_sgpr_workgroup_id_z 0
		.amdhsa_system_sgpr_workgroup_info 0
		.amdhsa_system_vgpr_workitem_id 0
		.amdhsa_next_free_vgpr 17
		.amdhsa_next_free_sgpr 78
		.amdhsa_accum_offset 20
		.amdhsa_reserve_vcc 1
		.amdhsa_float_round_mode_32 0
		.amdhsa_float_round_mode_16_64 0
		.amdhsa_float_denorm_mode_32 3
		.amdhsa_float_denorm_mode_16_64 3
		.amdhsa_dx10_clamp 1
		.amdhsa_ieee_mode 1
		.amdhsa_fp16_overflow 0
		.amdhsa_tg_split 0
		.amdhsa_exception_fp_ieee_invalid_op 0
		.amdhsa_exception_fp_denorm_src 0
		.amdhsa_exception_fp_ieee_div_zero 0
		.amdhsa_exception_fp_ieee_overflow 0
		.amdhsa_exception_fp_ieee_underflow 0
		.amdhsa_exception_fp_ieee_inexact 0
		.amdhsa_exception_int_div_zero 0
	.end_amdhsa_kernel
	.section	.text._ZN2at6native12cross_kernelIs16OffsetCalculatorILi3EjLb0EEiEEviPT_PKS4_S7_T0_T1_S9_S9_,"axG",@progbits,_ZN2at6native12cross_kernelIs16OffsetCalculatorILi3EjLb0EEiEEviPT_PKS4_S7_T0_T1_S9_S9_,comdat
.Lfunc_end9:
	.size	_ZN2at6native12cross_kernelIs16OffsetCalculatorILi3EjLb0EEiEEviPT_PKS4_S7_T0_T1_S9_S9_, .Lfunc_end9-_ZN2at6native12cross_kernelIs16OffsetCalculatorILi3EjLb0EEiEEviPT_PKS4_S7_T0_T1_S9_S9_
                                        ; -- End function
	.set _ZN2at6native12cross_kernelIs16OffsetCalculatorILi3EjLb0EEiEEviPT_PKS4_S7_T0_T1_S9_S9_.num_vgpr, 17
	.set _ZN2at6native12cross_kernelIs16OffsetCalculatorILi3EjLb0EEiEEviPT_PKS4_S7_T0_T1_S9_S9_.num_agpr, 0
	.set _ZN2at6native12cross_kernelIs16OffsetCalculatorILi3EjLb0EEiEEviPT_PKS4_S7_T0_T1_S9_S9_.numbered_sgpr, 78
	.set _ZN2at6native12cross_kernelIs16OffsetCalculatorILi3EjLb0EEiEEviPT_PKS4_S7_T0_T1_S9_S9_.num_named_barrier, 0
	.set _ZN2at6native12cross_kernelIs16OffsetCalculatorILi3EjLb0EEiEEviPT_PKS4_S7_T0_T1_S9_S9_.private_seg_size, 0
	.set _ZN2at6native12cross_kernelIs16OffsetCalculatorILi3EjLb0EEiEEviPT_PKS4_S7_T0_T1_S9_S9_.uses_vcc, 1
	.set _ZN2at6native12cross_kernelIs16OffsetCalculatorILi3EjLb0EEiEEviPT_PKS4_S7_T0_T1_S9_S9_.uses_flat_scratch, 0
	.set _ZN2at6native12cross_kernelIs16OffsetCalculatorILi3EjLb0EEiEEviPT_PKS4_S7_T0_T1_S9_S9_.has_dyn_sized_stack, 0
	.set _ZN2at6native12cross_kernelIs16OffsetCalculatorILi3EjLb0EEiEEviPT_PKS4_S7_T0_T1_S9_S9_.has_recursion, 0
	.set _ZN2at6native12cross_kernelIs16OffsetCalculatorILi3EjLb0EEiEEviPT_PKS4_S7_T0_T1_S9_S9_.has_indirect_call, 0
	.section	.AMDGPU.csdata,"",@progbits
; Kernel info:
; codeLenInByte = 1220
; TotalNumSgprs: 84
; NumVgprs: 17
; NumAgprs: 0
; TotalNumVgprs: 17
; ScratchSize: 0
; MemoryBound: 0
; FloatMode: 240
; IeeeMode: 1
; LDSByteSize: 0 bytes/workgroup (compile time only)
; SGPRBlocks: 10
; VGPRBlocks: 2
; NumSGPRsForWavesPerEU: 84
; NumVGPRsForWavesPerEU: 17
; AccumOffset: 20
; Occupancy: 8
; WaveLimiterHint : 1
; COMPUTE_PGM_RSRC2:SCRATCH_EN: 0
; COMPUTE_PGM_RSRC2:USER_SGPR: 2
; COMPUTE_PGM_RSRC2:TRAP_HANDLER: 0
; COMPUTE_PGM_RSRC2:TGID_X_EN: 1
; COMPUTE_PGM_RSRC2:TGID_Y_EN: 0
; COMPUTE_PGM_RSRC2:TGID_Z_EN: 0
; COMPUTE_PGM_RSRC2:TIDIG_COMP_CNT: 0
; COMPUTE_PGM_RSRC3_GFX90A:ACCUM_OFFSET: 4
; COMPUTE_PGM_RSRC3_GFX90A:TG_SPLIT: 0
	.section	.text._ZN2at6native12cross_kernelId16OffsetCalculatorILi3EjLb0EElEEviPT_PKS4_S7_T0_T1_S9_S9_,"axG",@progbits,_ZN2at6native12cross_kernelId16OffsetCalculatorILi3EjLb0EElEEviPT_PKS4_S7_T0_T1_S9_S9_,comdat
	.protected	_ZN2at6native12cross_kernelId16OffsetCalculatorILi3EjLb0EElEEviPT_PKS4_S7_T0_T1_S9_S9_ ; -- Begin function _ZN2at6native12cross_kernelId16OffsetCalculatorILi3EjLb0EElEEviPT_PKS4_S7_T0_T1_S9_S9_
	.globl	_ZN2at6native12cross_kernelId16OffsetCalculatorILi3EjLb0EElEEviPT_PKS4_S7_T0_T1_S9_S9_
	.p2align	8
	.type	_ZN2at6native12cross_kernelId16OffsetCalculatorILi3EjLb0EElEEviPT_PKS4_S7_T0_T1_S9_S9_,@function
_ZN2at6native12cross_kernelId16OffsetCalculatorILi3EjLb0EElEEviPT_PKS4_S7_T0_T1_S9_S9_: ; @_ZN2at6native12cross_kernelId16OffsetCalculatorILi3EjLb0EElEEviPT_PKS4_S7_T0_T1_S9_S9_
; %bb.0:
	s_load_dword s34, s[0:1], 0x0
	s_load_dword s3, s[0:1], 0x1cc
	v_mov_b32_e32 v1, 0
	v_mov_b32_e32 v2, s2
	s_waitcnt lgkmcnt(0)
	s_ashr_i32 s35, s34, 31
	s_add_u32 s12, s0, 0x1c0
	s_addc_u32 s13, s1, 0
	s_and_b32 s3, s3, 0xffff
	v_mad_u64_u32 v[2:3], s[4:5], s3, v2, v[0:1]
	v_cmp_gt_i64_e32 vcc, s[34:35], v[2:3]
	s_and_saveexec_b64 s[4:5], vcc
	s_cbranch_execz .LBB10_17
; %bb.1:
	s_load_dwordx4 s[28:31], s[0:1], 0x8
	s_load_dwordx2 s[52:53], s[0:1], 0x18
	s_load_dwordx8 s[4:11], s[0:1], 0x20
	s_load_dwordx2 s[14:15], s[0:1], 0x1b8
	s_load_dwordx4 s[36:39], s[0:1], 0x1a8
	s_load_dword s2, s[12:13], 0x0
	s_load_dwordx4 s[40:43], s[0:1], 0xe4
	s_load_dwordx2 s[60:61], s[0:1], 0xf4
	s_waitcnt lgkmcnt(0)
	v_sub_co_u32_e64 v0, s[12:13], s4, 1
	s_xor_b64 s[54:55], s[12:13], -1
	s_add_u32 s56, s0, 36
	v_readfirstlane_b32 s11, v0
	s_addc_u32 s57, s1, 0
	s_min_u32 s12, s11, 15
	s_cmp_gt_u32 s4, 1
	s_cselect_b64 s[62:63], -1, 0
	s_add_i32 s12, s12, 1
	s_mov_b32 s11, s41
	s_mov_b32 s4, s9
	s_lshl_b64 s[64:65], s[14:15], 4
	s_and_b32 s9, s12, 3
	s_and_b32 s41, s12, 28
	s_cmp_lg_u32 s9, 0
	s_cselect_b64 s[66:67], -1, 0
	s_lshl_b64 s[68:69], s[38:39], 3
	s_lshl_b64 s[0:1], s[14:15], 3
	s_sub_u32 s72, 0, s0
	s_mov_b32 s59, 0
	s_mov_b32 s33, s42
	s_mul_i32 s58, s2, s3
	s_mov_b64 s[70:71], 0
	s_subb_u32 s73, 0, s1
	s_lshl_b64 s[74:75], s[36:37], 3
	v_cmp_lt_u32_e64 s[0:1], 1, v0
	v_cmp_ne_u32_e64 s[2:3], 2, v0
	s_branch .LBB10_3
.LBB10_2:                               ;   in Loop: Header=BB10_3 Depth=1
	v_mov_b32_e32 v5, v1
	v_mov_b32_e32 v7, v1
	v_lshl_add_u64 v[4:5], v[4:5], 3, s[30:31]
	v_lshl_add_u64 v[6:7], v[6:7], 3, s[52:53]
	;; [unrolled: 1-line block ×4, first 2 shown]
	global_load_dwordx2 v[10:11], v[8:9], off
	global_load_dwordx2 v[14:15], v[12:13], off
	v_lshl_add_u64 v[8:9], v[8:9], 0, s[68:69]
	v_lshl_add_u64 v[12:13], v[12:13], 0, s[72:73]
	global_load_dwordx2 v[8:9], v[8:9], off
	s_nop 0
	global_load_dwordx2 v[4:5], v[4:5], off
	s_nop 0
	;; [unrolled: 2-line block ×3, first 2 shown]
	global_load_dwordx2 v[12:13], v[12:13], off
	v_lshl_add_u64 v[2:3], v[2:3], 0, s[58:59]
	v_lshl_add_u64 v[16:17], v[0:1], 3, s[28:29]
	v_cmp_le_i64_e32 vcc, s[34:35], v[2:3]
	v_lshl_add_u64 v[18:19], s[36:37], 3, v[16:17]
	s_or_b64 s[70:71], vcc, s[70:71]
	v_lshl_add_u64 v[20:21], v[18:19], 0, s[74:75]
	s_waitcnt vmcnt(2)
	v_mul_f64 v[22:23], v[14:15], v[4:5]
	s_waitcnt vmcnt(1)
	v_mul_f64 v[24:25], v[10:11], v[6:7]
	s_waitcnt vmcnt(0)
	v_mul_f64 v[26:27], v[8:9], v[12:13]
	v_fma_f64 v[6:7], v[8:9], v[6:7], -v[22:23]
	v_fma_f64 v[8:9], v[10:11], v[14:15], -v[26:27]
	v_fma_f64 v[4:5], v[12:13], v[4:5], -v[24:25]
	global_store_dwordx2 v[16:17], v[8:9], off
	global_store_dwordx2 v[18:19], v[6:7], off
	;; [unrolled: 1-line block ×3, first 2 shown]
	s_andn2_b64 exec, exec, s[70:71]
	s_cbranch_execz .LBB10_17
.LBB10_3:                               ; =>This Loop Header: Depth=1
                                        ;     Child Loop BB10_7 Depth 2
                                        ;     Child Loop BB10_11 Depth 2
	s_andn2_b64 vcc, exec, s[0:1]
	s_mov_b64 s[12:13], -1
                                        ; implicit-def: $vgpr6
                                        ; implicit-def: $vgpr4
	s_cbranch_vccnz .LBB10_14
; %bb.4:                                ;   in Loop: Header=BB10_3 Depth=1
	v_mov_b32_e32 v6, 0
	s_andn2_b64 vcc, exec, s[54:55]
	v_mov_b32_e32 v4, 0
	v_mov_b32_e32 v0, 0
	s_cbranch_vccnz .LBB10_13
; %bb.5:                                ;   in Loop: Header=BB10_3 Depth=1
	s_andn2_b64 vcc, exec, s[2:3]
	s_cbranch_vccnz .LBB10_9
; %bb.6:                                ;   in Loop: Header=BB10_3 Depth=1
	v_mov_b32_e32 v8, 0
	s_mov_b32 s42, 0
	s_mov_b64 s[76:77], s[56:57]
	v_mov_b32_e32 v0, v2
	v_mov_b32_e32 v4, 0
	;; [unrolled: 1-line block ×3, first 2 shown]
.LBB10_7:                               ;   Parent Loop BB10_3 Depth=1
                                        ; =>  This Inner Loop Header: Depth=2
	s_load_dwordx8 s[12:19], s[76:77], 0x0
	s_load_dwordx4 s[44:47], s[76:77], 0x20
	s_load_dwordx4 s[48:51], s[76:77], 0xe0
	s_load_dwordx8 s[20:27], s[76:77], 0xc0
	s_add_i32 s42, s42, 4
	s_waitcnt lgkmcnt(0)
	v_mul_hi_u32 v5, s13, v0
	v_add_u32_e32 v5, v0, v5
	v_lshrrev_b32_e32 v5, s14, v5
	v_mul_lo_u32 v7, v5, s12
	v_mul_hi_u32 v9, s16, v5
	v_sub_u32_e32 v0, v0, v7
	v_add_u32_e32 v7, v5, v9
	v_lshrrev_b32_e32 v7, s17, v7
	v_mul_lo_u32 v11, v7, s15
	v_mul_hi_u32 v12, s19, v7
	v_sub_u32_e32 v5, v5, v11
	v_add_u32_e32 v11, v7, v12
	v_mul_lo_u32 v9, v0, s20
	v_mul_lo_u32 v10, v0, s22
	;; [unrolled: 1-line block ×6, first 2 shown]
	v_lshrrev_b32_e32 v11, s44, v11
	v_add3_u32 v4, v0, v4, v5
	v_add3_u32 v5, v10, v6, v13
	v_mul_lo_u32 v0, v11, s18
	v_mul_hi_u32 v6, s46, v11
	v_sub_u32_e32 v0, v7, v0
	v_add_u32_e32 v6, v11, v6
	v_add3_u32 v8, v9, v8, v12
	v_mul_lo_u32 v7, v0, s26
	v_mul_lo_u32 v9, v0, s27
	;; [unrolled: 1-line block ×3, first 2 shown]
	v_lshrrev_b32_e32 v0, s47, v6
	v_mul_lo_u32 v6, v0, s45
	s_add_u32 s76, s76, 48
	v_sub_u32_e32 v6, v11, v6
	s_addc_u32 s77, s77, 0
	v_mul_lo_u32 v11, v6, s49
	v_mul_lo_u32 v12, v6, s50
	;; [unrolled: 1-line block ×3, first 2 shown]
	s_cmp_lg_u32 s41, s42
	v_add3_u32 v8, v7, v8, v11
	v_add3_u32 v6, v10, v5, v6
	;; [unrolled: 1-line block ×3, first 2 shown]
	s_cbranch_scc1 .LBB10_7
; %bb.8:                                ;   in Loop: Header=BB10_3 Depth=1
	v_mov_b32_e32 v5, v6
	s_mov_b32 s12, s41
	s_andn2_b64 vcc, exec, s[66:67]
	s_cbranch_vccz .LBB10_10
	s_branch .LBB10_12
.LBB10_9:                               ;   in Loop: Header=BB10_3 Depth=1
	v_mov_b32_e32 v0, v1
	s_mov_b32 s12, 0
	v_mov_b32_e32 v8, 0
                                        ; implicit-def: $vgpr6
	v_mov_b64_e32 v[4:5], v[0:1]
	v_mov_b32_e32 v0, v2
	s_andn2_b64 vcc, exec, s[66:67]
	s_cbranch_vccnz .LBB10_12
.LBB10_10:                              ;   in Loop: Header=BB10_3 Depth=1
	s_mul_i32 s12, s12, 12
	s_add_u32 s12, s56, s12
	s_addc_u32 s13, s57, 0
	s_mov_b32 s14, s9
.LBB10_11:                              ;   Parent Loop BB10_3 Depth=1
                                        ; =>  This Inner Loop Header: Depth=2
	s_load_dwordx2 s[16:17], s[12:13], 0x0
	s_load_dword s15, s[12:13], 0x8
	s_load_dwordx2 s[18:19], s[12:13], 0xc0
	s_load_dword s20, s[12:13], 0xc8
	v_mov_b32_e32 v6, v5
	s_waitcnt lgkmcnt(0)
	v_mul_hi_u32 v5, s17, v0
	v_add_u32_e32 v5, v0, v5
	v_lshrrev_b32_e32 v5, s15, v5
	v_mul_lo_u32 v7, v5, s16
	s_add_u32 s12, s12, 12
	v_sub_u32_e32 v10, v0, v7
	s_addc_u32 s13, s13, 0
	s_add_i32 s14, s14, -1
	v_mov_b32_e32 v0, v5
	v_mad_u64_u32 v[6:7], s[16:17], v10, s20, v[6:7]
	v_mad_u64_u32 v[4:5], s[16:17], v10, s19, v[4:5]
	s_cmp_lg_u32 s14, 0
	v_mad_u64_u32 v[8:9], s[16:17], v10, s18, v[8:9]
	v_mov_b32_e32 v5, v6
	s_cbranch_scc1 .LBB10_11
.LBB10_12:                              ;   in Loop: Header=BB10_3 Depth=1
	v_mov_b32_e32 v0, v8
.LBB10_13:                              ;   in Loop: Header=BB10_3 Depth=1
	s_mov_b64 s[12:13], 0
.LBB10_14:                              ;   in Loop: Header=BB10_3 Depth=1
	s_andn2_b64 vcc, exec, s[12:13]
	s_cbranch_vccnz .LBB10_2
; %bb.15:                               ;   in Loop: Header=BB10_3 Depth=1
	v_mul_lo_u32 v0, v3, s6
	v_mul_hi_u32 v4, v2, s6
	v_add3_u32 v0, v4, v0, v2
	v_lshrrev_b32_e32 v5, s7, v0
	v_mul_lo_u32 v0, v5, s5
	v_sub_u32_e32 v4, v2, v0
	v_mul_lo_u32 v0, v4, s40
	v_mul_lo_u32 v6, v4, s33
	s_andn2_b64 vcc, exec, s[62:63]
	v_mul_lo_u32 v4, v4, s11
	s_cbranch_vccnz .LBB10_2
; %bb.16:                               ;   in Loop: Header=BB10_3 Depth=1
	v_mul_hi_u32 v7, s4, v5
	v_add_u32_e32 v7, v5, v7
	v_lshrrev_b32_e32 v7, s10, v7
	v_mul_lo_u32 v7, v7, s8
	v_sub_u32_e32 v7, v5, v7
	v_mad_u64_u32 v[8:9], s[12:13], v7, s43, v[0:1]
	v_mad_u64_u32 v[4:5], s[12:13], v7, s60, v[4:5]
	v_mad_u64_u32 v[6:7], s[12:13], v7, s61, v[6:7]
	v_mov_b32_e32 v0, v8
	s_branch .LBB10_2
.LBB10_17:
	s_endpgm
	.section	.rodata,"a",@progbits
	.p2align	6, 0x0
	.amdhsa_kernel _ZN2at6native12cross_kernelId16OffsetCalculatorILi3EjLb0EElEEviPT_PKS4_S7_T0_T1_S9_S9_
		.amdhsa_group_segment_fixed_size 0
		.amdhsa_private_segment_fixed_size 0
		.amdhsa_kernarg_size 704
		.amdhsa_user_sgpr_count 2
		.amdhsa_user_sgpr_dispatch_ptr 0
		.amdhsa_user_sgpr_queue_ptr 0
		.amdhsa_user_sgpr_kernarg_segment_ptr 1
		.amdhsa_user_sgpr_dispatch_id 0
		.amdhsa_user_sgpr_kernarg_preload_length 0
		.amdhsa_user_sgpr_kernarg_preload_offset 0
		.amdhsa_user_sgpr_private_segment_size 0
		.amdhsa_uses_dynamic_stack 0
		.amdhsa_enable_private_segment 0
		.amdhsa_system_sgpr_workgroup_id_x 1
		.amdhsa_system_sgpr_workgroup_id_y 0
		.amdhsa_system_sgpr_workgroup_id_z 0
		.amdhsa_system_sgpr_workgroup_info 0
		.amdhsa_system_vgpr_workitem_id 0
		.amdhsa_next_free_vgpr 28
		.amdhsa_next_free_sgpr 78
		.amdhsa_accum_offset 28
		.amdhsa_reserve_vcc 1
		.amdhsa_float_round_mode_32 0
		.amdhsa_float_round_mode_16_64 0
		.amdhsa_float_denorm_mode_32 3
		.amdhsa_float_denorm_mode_16_64 3
		.amdhsa_dx10_clamp 1
		.amdhsa_ieee_mode 1
		.amdhsa_fp16_overflow 0
		.amdhsa_tg_split 0
		.amdhsa_exception_fp_ieee_invalid_op 0
		.amdhsa_exception_fp_denorm_src 0
		.amdhsa_exception_fp_ieee_div_zero 0
		.amdhsa_exception_fp_ieee_overflow 0
		.amdhsa_exception_fp_ieee_underflow 0
		.amdhsa_exception_fp_ieee_inexact 0
		.amdhsa_exception_int_div_zero 0
	.end_amdhsa_kernel
	.section	.text._ZN2at6native12cross_kernelId16OffsetCalculatorILi3EjLb0EElEEviPT_PKS4_S7_T0_T1_S9_S9_,"axG",@progbits,_ZN2at6native12cross_kernelId16OffsetCalculatorILi3EjLb0EElEEviPT_PKS4_S7_T0_T1_S9_S9_,comdat
.Lfunc_end10:
	.size	_ZN2at6native12cross_kernelId16OffsetCalculatorILi3EjLb0EElEEviPT_PKS4_S7_T0_T1_S9_S9_, .Lfunc_end10-_ZN2at6native12cross_kernelId16OffsetCalculatorILi3EjLb0EElEEviPT_PKS4_S7_T0_T1_S9_S9_
                                        ; -- End function
	.set _ZN2at6native12cross_kernelId16OffsetCalculatorILi3EjLb0EElEEviPT_PKS4_S7_T0_T1_S9_S9_.num_vgpr, 28
	.set _ZN2at6native12cross_kernelId16OffsetCalculatorILi3EjLb0EElEEviPT_PKS4_S7_T0_T1_S9_S9_.num_agpr, 0
	.set _ZN2at6native12cross_kernelId16OffsetCalculatorILi3EjLb0EElEEviPT_PKS4_S7_T0_T1_S9_S9_.numbered_sgpr, 78
	.set _ZN2at6native12cross_kernelId16OffsetCalculatorILi3EjLb0EElEEviPT_PKS4_S7_T0_T1_S9_S9_.num_named_barrier, 0
	.set _ZN2at6native12cross_kernelId16OffsetCalculatorILi3EjLb0EElEEviPT_PKS4_S7_T0_T1_S9_S9_.private_seg_size, 0
	.set _ZN2at6native12cross_kernelId16OffsetCalculatorILi3EjLb0EElEEviPT_PKS4_S7_T0_T1_S9_S9_.uses_vcc, 1
	.set _ZN2at6native12cross_kernelId16OffsetCalculatorILi3EjLb0EElEEviPT_PKS4_S7_T0_T1_S9_S9_.uses_flat_scratch, 0
	.set _ZN2at6native12cross_kernelId16OffsetCalculatorILi3EjLb0EElEEviPT_PKS4_S7_T0_T1_S9_S9_.has_dyn_sized_stack, 0
	.set _ZN2at6native12cross_kernelId16OffsetCalculatorILi3EjLb0EElEEviPT_PKS4_S7_T0_T1_S9_S9_.has_recursion, 0
	.set _ZN2at6native12cross_kernelId16OffsetCalculatorILi3EjLb0EElEEviPT_PKS4_S7_T0_T1_S9_S9_.has_indirect_call, 0
	.section	.AMDGPU.csdata,"",@progbits
; Kernel info:
; codeLenInByte = 1224
; TotalNumSgprs: 84
; NumVgprs: 28
; NumAgprs: 0
; TotalNumVgprs: 28
; ScratchSize: 0
; MemoryBound: 0
; FloatMode: 240
; IeeeMode: 1
; LDSByteSize: 0 bytes/workgroup (compile time only)
; SGPRBlocks: 10
; VGPRBlocks: 3
; NumSGPRsForWavesPerEU: 84
; NumVGPRsForWavesPerEU: 28
; AccumOffset: 28
; Occupancy: 8
; WaveLimiterHint : 1
; COMPUTE_PGM_RSRC2:SCRATCH_EN: 0
; COMPUTE_PGM_RSRC2:USER_SGPR: 2
; COMPUTE_PGM_RSRC2:TRAP_HANDLER: 0
; COMPUTE_PGM_RSRC2:TGID_X_EN: 1
; COMPUTE_PGM_RSRC2:TGID_Y_EN: 0
; COMPUTE_PGM_RSRC2:TGID_Z_EN: 0
; COMPUTE_PGM_RSRC2:TIDIG_COMP_CNT: 0
; COMPUTE_PGM_RSRC3_GFX90A:ACCUM_OFFSET: 6
; COMPUTE_PGM_RSRC3_GFX90A:TG_SPLIT: 0
	.section	.text._ZN2at6native12cross_kernelId16OffsetCalculatorILi3EjLb0EEiEEviPT_PKS4_S7_T0_T1_S9_S9_,"axG",@progbits,_ZN2at6native12cross_kernelId16OffsetCalculatorILi3EjLb0EEiEEviPT_PKS4_S7_T0_T1_S9_S9_,comdat
	.protected	_ZN2at6native12cross_kernelId16OffsetCalculatorILi3EjLb0EEiEEviPT_PKS4_S7_T0_T1_S9_S9_ ; -- Begin function _ZN2at6native12cross_kernelId16OffsetCalculatorILi3EjLb0EEiEEviPT_PKS4_S7_T0_T1_S9_S9_
	.globl	_ZN2at6native12cross_kernelId16OffsetCalculatorILi3EjLb0EEiEEviPT_PKS4_S7_T0_T1_S9_S9_
	.p2align	8
	.type	_ZN2at6native12cross_kernelId16OffsetCalculatorILi3EjLb0EEiEEviPT_PKS4_S7_T0_T1_S9_S9_,@function
_ZN2at6native12cross_kernelId16OffsetCalculatorILi3EjLb0EEiEEviPT_PKS4_S7_T0_T1_S9_S9_: ; @_ZN2at6native12cross_kernelId16OffsetCalculatorILi3EjLb0EEiEEviPT_PKS4_S7_T0_T1_S9_S9_
; %bb.0:
	s_load_dword s34, s[0:1], 0x0
	s_load_dword s3, s[0:1], 0x1bc
	v_mov_b32_e32 v1, 0
	v_mov_b32_e32 v2, s2
	s_waitcnt lgkmcnt(0)
	s_ashr_i32 s35, s34, 31
	s_add_u32 s12, s0, 0x1b0
	s_addc_u32 s13, s1, 0
	s_and_b32 s3, s3, 0xffff
	v_mad_u64_u32 v[2:3], s[4:5], s3, v2, v[0:1]
	v_cmp_gt_i64_e32 vcc, s[34:35], v[2:3]
	s_and_saveexec_b64 s[4:5], vcc
	s_cbranch_execz .LBB11_17
; %bb.1:
	s_load_dwordx8 s[4:11], s[0:1], 0x20
	s_load_dwordx4 s[28:31], s[0:1], 0x8
	s_load_dwordx2 s[52:53], s[0:1], 0x18
	s_load_dwordx4 s[36:39], s[0:1], 0x1a4
	s_load_dword s2, s[12:13], 0x0
	s_waitcnt lgkmcnt(0)
	v_sub_co_u32_e64 v0, s[12:13], s4, 1
	s_xor_b64 s[54:55], s[12:13], -1
	s_load_dwordx4 s[40:43], s[0:1], 0xe4
	s_load_dwordx2 s[60:61], s[0:1], 0xf4
	s_add_u32 s56, s0, 36
	v_readfirstlane_b32 s11, v0
	s_addc_u32 s57, s1, 0
	s_min_u32 s12, s11, 15
	s_cmp_gt_u32 s4, 1
	s_cselect_b64 s[62:63], -1, 0
	s_lshl_b32 s66, s38, 1
	s_add_i32 s12, s12, 1
	s_waitcnt lgkmcnt(0)
	s_mov_b32 s11, s41
	s_mov_b32 s4, s9
	s_ashr_i32 s65, s37, 31
	s_mov_b32 s64, s37
	s_ashr_i32 s67, s66, 31
	s_ashr_i32 s37, s36, 31
	s_and_b32 s9, s12, 3
	s_and_b32 s41, s12, 28
	s_cmp_lg_u32 s9, 0
	s_cselect_b64 s[68:69], -1, 0
	s_ashr_i32 s39, s38, 31
	s_lshl_b64 s[70:71], s[64:65], 3
	s_lshl_b64 s[0:1], s[38:39], 3
	s_sub_u32 s72, 0, s0
	s_mov_b32 s59, 0
	s_mov_b32 s33, s42
	s_mul_i32 s58, s2, s3
	s_mov_b64 s[38:39], 0
	s_subb_u32 s73, 0, s1
	s_lshl_b64 s[74:75], s[36:37], 3
	v_cmp_lt_u32_e64 s[0:1], 1, v0
	v_cmp_ne_u32_e64 s[2:3], 2, v0
	s_branch .LBB11_3
.LBB11_2:                               ;   in Loop: Header=BB11_3 Depth=1
	v_mov_b32_e32 v5, v1
	v_mov_b32_e32 v7, v1
	v_lshl_add_u64 v[4:5], v[4:5], 3, s[30:31]
	v_lshl_add_u64 v[6:7], v[6:7], 3, s[52:53]
	;; [unrolled: 1-line block ×4, first 2 shown]
	global_load_dwordx2 v[10:11], v[8:9], off
	global_load_dwordx2 v[14:15], v[12:13], off
	v_lshl_add_u64 v[8:9], v[8:9], 0, s[70:71]
	v_lshl_add_u64 v[12:13], v[12:13], 0, s[72:73]
	global_load_dwordx2 v[8:9], v[8:9], off
	s_nop 0
	global_load_dwordx2 v[4:5], v[4:5], off
	s_nop 0
	;; [unrolled: 2-line block ×3, first 2 shown]
	global_load_dwordx2 v[12:13], v[12:13], off
	v_lshl_add_u64 v[2:3], v[2:3], 0, s[58:59]
	v_lshl_add_u64 v[16:17], v[0:1], 3, s[28:29]
	v_cmp_le_i64_e32 vcc, s[34:35], v[2:3]
	v_lshl_add_u64 v[18:19], s[36:37], 3, v[16:17]
	s_or_b64 s[38:39], vcc, s[38:39]
	v_lshl_add_u64 v[20:21], v[18:19], 0, s[74:75]
	s_waitcnt vmcnt(2)
	v_mul_f64 v[22:23], v[14:15], v[4:5]
	s_waitcnt vmcnt(1)
	v_mul_f64 v[24:25], v[10:11], v[6:7]
	;; [unrolled: 2-line block ×3, first 2 shown]
	v_fma_f64 v[6:7], v[8:9], v[6:7], -v[22:23]
	v_fma_f64 v[8:9], v[10:11], v[14:15], -v[26:27]
	;; [unrolled: 1-line block ×3, first 2 shown]
	global_store_dwordx2 v[16:17], v[8:9], off
	global_store_dwordx2 v[18:19], v[6:7], off
	;; [unrolled: 1-line block ×3, first 2 shown]
	s_andn2_b64 exec, exec, s[38:39]
	s_cbranch_execz .LBB11_17
.LBB11_3:                               ; =>This Loop Header: Depth=1
                                        ;     Child Loop BB11_7 Depth 2
                                        ;     Child Loop BB11_11 Depth 2
	s_andn2_b64 vcc, exec, s[0:1]
	s_mov_b64 s[12:13], -1
                                        ; implicit-def: $vgpr6
                                        ; implicit-def: $vgpr4
	s_cbranch_vccnz .LBB11_14
; %bb.4:                                ;   in Loop: Header=BB11_3 Depth=1
	v_mov_b32_e32 v6, 0
	s_andn2_b64 vcc, exec, s[54:55]
	v_mov_b32_e32 v4, 0
	v_mov_b32_e32 v0, 0
	s_cbranch_vccnz .LBB11_13
; %bb.5:                                ;   in Loop: Header=BB11_3 Depth=1
	s_andn2_b64 vcc, exec, s[2:3]
	s_cbranch_vccnz .LBB11_9
; %bb.6:                                ;   in Loop: Header=BB11_3 Depth=1
	v_mov_b32_e32 v8, 0
	s_mov_b32 s42, 0
	s_mov_b64 s[76:77], s[56:57]
	v_mov_b32_e32 v0, v2
	v_mov_b32_e32 v4, 0
	;; [unrolled: 1-line block ×3, first 2 shown]
.LBB11_7:                               ;   Parent Loop BB11_3 Depth=1
                                        ; =>  This Inner Loop Header: Depth=2
	s_load_dwordx8 s[12:19], s[76:77], 0x0
	s_load_dwordx4 s[44:47], s[76:77], 0x20
	s_load_dwordx4 s[48:51], s[76:77], 0xe0
	s_load_dwordx8 s[20:27], s[76:77], 0xc0
	s_add_i32 s42, s42, 4
	s_waitcnt lgkmcnt(0)
	v_mul_hi_u32 v5, s13, v0
	v_add_u32_e32 v5, v0, v5
	v_lshrrev_b32_e32 v5, s14, v5
	v_mul_lo_u32 v7, v5, s12
	v_mul_hi_u32 v9, s16, v5
	v_sub_u32_e32 v0, v0, v7
	v_add_u32_e32 v7, v5, v9
	v_lshrrev_b32_e32 v7, s17, v7
	v_mul_lo_u32 v11, v7, s15
	v_mul_hi_u32 v12, s19, v7
	v_sub_u32_e32 v5, v5, v11
	v_add_u32_e32 v11, v7, v12
	v_mul_lo_u32 v9, v0, s20
	v_mul_lo_u32 v10, v0, s22
	;; [unrolled: 1-line block ×6, first 2 shown]
	v_lshrrev_b32_e32 v11, s44, v11
	v_add3_u32 v4, v0, v4, v5
	v_add3_u32 v5, v10, v6, v13
	v_mul_lo_u32 v0, v11, s18
	v_mul_hi_u32 v6, s46, v11
	v_sub_u32_e32 v0, v7, v0
	v_add_u32_e32 v6, v11, v6
	v_add3_u32 v8, v9, v8, v12
	v_mul_lo_u32 v7, v0, s26
	v_mul_lo_u32 v9, v0, s27
	;; [unrolled: 1-line block ×3, first 2 shown]
	v_lshrrev_b32_e32 v0, s47, v6
	v_mul_lo_u32 v6, v0, s45
	s_add_u32 s76, s76, 48
	v_sub_u32_e32 v6, v11, v6
	s_addc_u32 s77, s77, 0
	v_mul_lo_u32 v11, v6, s49
	v_mul_lo_u32 v12, v6, s50
	;; [unrolled: 1-line block ×3, first 2 shown]
	s_cmp_lg_u32 s41, s42
	v_add3_u32 v8, v7, v8, v11
	v_add3_u32 v6, v10, v5, v6
	;; [unrolled: 1-line block ×3, first 2 shown]
	s_cbranch_scc1 .LBB11_7
; %bb.8:                                ;   in Loop: Header=BB11_3 Depth=1
	v_mov_b32_e32 v5, v6
	s_mov_b32 s12, s41
	s_andn2_b64 vcc, exec, s[68:69]
	s_cbranch_vccz .LBB11_10
	s_branch .LBB11_12
.LBB11_9:                               ;   in Loop: Header=BB11_3 Depth=1
	v_mov_b32_e32 v0, v1
	s_mov_b32 s12, 0
	v_mov_b32_e32 v8, 0
                                        ; implicit-def: $vgpr6
	v_mov_b64_e32 v[4:5], v[0:1]
	v_mov_b32_e32 v0, v2
	s_andn2_b64 vcc, exec, s[68:69]
	s_cbranch_vccnz .LBB11_12
.LBB11_10:                              ;   in Loop: Header=BB11_3 Depth=1
	s_mul_i32 s12, s12, 12
	s_add_u32 s12, s56, s12
	s_addc_u32 s13, s57, 0
	s_mov_b32 s14, s9
.LBB11_11:                              ;   Parent Loop BB11_3 Depth=1
                                        ; =>  This Inner Loop Header: Depth=2
	s_load_dwordx2 s[16:17], s[12:13], 0x0
	s_load_dword s15, s[12:13], 0x8
	s_load_dwordx2 s[18:19], s[12:13], 0xc0
	s_load_dword s20, s[12:13], 0xc8
	v_mov_b32_e32 v6, v5
	s_waitcnt lgkmcnt(0)
	v_mul_hi_u32 v5, s17, v0
	v_add_u32_e32 v5, v0, v5
	v_lshrrev_b32_e32 v5, s15, v5
	v_mul_lo_u32 v7, v5, s16
	s_add_u32 s12, s12, 12
	v_sub_u32_e32 v10, v0, v7
	s_addc_u32 s13, s13, 0
	s_add_i32 s14, s14, -1
	v_mov_b32_e32 v0, v5
	v_mad_u64_u32 v[6:7], s[16:17], v10, s20, v[6:7]
	v_mad_u64_u32 v[4:5], s[16:17], v10, s19, v[4:5]
	s_cmp_lg_u32 s14, 0
	v_mad_u64_u32 v[8:9], s[16:17], v10, s18, v[8:9]
	v_mov_b32_e32 v5, v6
	s_cbranch_scc1 .LBB11_11
.LBB11_12:                              ;   in Loop: Header=BB11_3 Depth=1
	v_mov_b32_e32 v0, v8
.LBB11_13:                              ;   in Loop: Header=BB11_3 Depth=1
	s_mov_b64 s[12:13], 0
.LBB11_14:                              ;   in Loop: Header=BB11_3 Depth=1
	s_andn2_b64 vcc, exec, s[12:13]
	s_cbranch_vccnz .LBB11_2
; %bb.15:                               ;   in Loop: Header=BB11_3 Depth=1
	v_mul_lo_u32 v0, v3, s6
	v_mul_hi_u32 v4, v2, s6
	v_add3_u32 v0, v4, v0, v2
	v_lshrrev_b32_e32 v5, s7, v0
	v_mul_lo_u32 v0, v5, s5
	v_sub_u32_e32 v4, v2, v0
	v_mul_lo_u32 v0, v4, s40
	v_mul_lo_u32 v6, v4, s33
	s_andn2_b64 vcc, exec, s[62:63]
	v_mul_lo_u32 v4, v4, s11
	s_cbranch_vccnz .LBB11_2
; %bb.16:                               ;   in Loop: Header=BB11_3 Depth=1
	v_mul_hi_u32 v7, s4, v5
	v_add_u32_e32 v7, v5, v7
	v_lshrrev_b32_e32 v7, s10, v7
	v_mul_lo_u32 v7, v7, s8
	v_sub_u32_e32 v7, v5, v7
	v_mad_u64_u32 v[8:9], s[12:13], v7, s43, v[0:1]
	v_mad_u64_u32 v[4:5], s[12:13], v7, s60, v[4:5]
	;; [unrolled: 1-line block ×3, first 2 shown]
	v_mov_b32_e32 v0, v8
	s_branch .LBB11_2
.LBB11_17:
	s_endpgm
	.section	.rodata,"a",@progbits
	.p2align	6, 0x0
	.amdhsa_kernel _ZN2at6native12cross_kernelId16OffsetCalculatorILi3EjLb0EEiEEviPT_PKS4_S7_T0_T1_S9_S9_
		.amdhsa_group_segment_fixed_size 0
		.amdhsa_private_segment_fixed_size 0
		.amdhsa_kernarg_size 688
		.amdhsa_user_sgpr_count 2
		.amdhsa_user_sgpr_dispatch_ptr 0
		.amdhsa_user_sgpr_queue_ptr 0
		.amdhsa_user_sgpr_kernarg_segment_ptr 1
		.amdhsa_user_sgpr_dispatch_id 0
		.amdhsa_user_sgpr_kernarg_preload_length 0
		.amdhsa_user_sgpr_kernarg_preload_offset 0
		.amdhsa_user_sgpr_private_segment_size 0
		.amdhsa_uses_dynamic_stack 0
		.amdhsa_enable_private_segment 0
		.amdhsa_system_sgpr_workgroup_id_x 1
		.amdhsa_system_sgpr_workgroup_id_y 0
		.amdhsa_system_sgpr_workgroup_id_z 0
		.amdhsa_system_sgpr_workgroup_info 0
		.amdhsa_system_vgpr_workitem_id 0
		.amdhsa_next_free_vgpr 28
		.amdhsa_next_free_sgpr 78
		.amdhsa_accum_offset 28
		.amdhsa_reserve_vcc 1
		.amdhsa_float_round_mode_32 0
		.amdhsa_float_round_mode_16_64 0
		.amdhsa_float_denorm_mode_32 3
		.amdhsa_float_denorm_mode_16_64 3
		.amdhsa_dx10_clamp 1
		.amdhsa_ieee_mode 1
		.amdhsa_fp16_overflow 0
		.amdhsa_tg_split 0
		.amdhsa_exception_fp_ieee_invalid_op 0
		.amdhsa_exception_fp_denorm_src 0
		.amdhsa_exception_fp_ieee_div_zero 0
		.amdhsa_exception_fp_ieee_overflow 0
		.amdhsa_exception_fp_ieee_underflow 0
		.amdhsa_exception_fp_ieee_inexact 0
		.amdhsa_exception_int_div_zero 0
	.end_amdhsa_kernel
	.section	.text._ZN2at6native12cross_kernelId16OffsetCalculatorILi3EjLb0EEiEEviPT_PKS4_S7_T0_T1_S9_S9_,"axG",@progbits,_ZN2at6native12cross_kernelId16OffsetCalculatorILi3EjLb0EEiEEviPT_PKS4_S7_T0_T1_S9_S9_,comdat
.Lfunc_end11:
	.size	_ZN2at6native12cross_kernelId16OffsetCalculatorILi3EjLb0EEiEEviPT_PKS4_S7_T0_T1_S9_S9_, .Lfunc_end11-_ZN2at6native12cross_kernelId16OffsetCalculatorILi3EjLb0EEiEEviPT_PKS4_S7_T0_T1_S9_S9_
                                        ; -- End function
	.set _ZN2at6native12cross_kernelId16OffsetCalculatorILi3EjLb0EEiEEviPT_PKS4_S7_T0_T1_S9_S9_.num_vgpr, 28
	.set _ZN2at6native12cross_kernelId16OffsetCalculatorILi3EjLb0EEiEEviPT_PKS4_S7_T0_T1_S9_S9_.num_agpr, 0
	.set _ZN2at6native12cross_kernelId16OffsetCalculatorILi3EjLb0EEiEEviPT_PKS4_S7_T0_T1_S9_S9_.numbered_sgpr, 78
	.set _ZN2at6native12cross_kernelId16OffsetCalculatorILi3EjLb0EEiEEviPT_PKS4_S7_T0_T1_S9_S9_.num_named_barrier, 0
	.set _ZN2at6native12cross_kernelId16OffsetCalculatorILi3EjLb0EEiEEviPT_PKS4_S7_T0_T1_S9_S9_.private_seg_size, 0
	.set _ZN2at6native12cross_kernelId16OffsetCalculatorILi3EjLb0EEiEEviPT_PKS4_S7_T0_T1_S9_S9_.uses_vcc, 1
	.set _ZN2at6native12cross_kernelId16OffsetCalculatorILi3EjLb0EEiEEviPT_PKS4_S7_T0_T1_S9_S9_.uses_flat_scratch, 0
	.set _ZN2at6native12cross_kernelId16OffsetCalculatorILi3EjLb0EEiEEviPT_PKS4_S7_T0_T1_S9_S9_.has_dyn_sized_stack, 0
	.set _ZN2at6native12cross_kernelId16OffsetCalculatorILi3EjLb0EEiEEviPT_PKS4_S7_T0_T1_S9_S9_.has_recursion, 0
	.set _ZN2at6native12cross_kernelId16OffsetCalculatorILi3EjLb0EEiEEviPT_PKS4_S7_T0_T1_S9_S9_.has_indirect_call, 0
	.section	.AMDGPU.csdata,"",@progbits
; Kernel info:
; codeLenInByte = 1240
; TotalNumSgprs: 84
; NumVgprs: 28
; NumAgprs: 0
; TotalNumVgprs: 28
; ScratchSize: 0
; MemoryBound: 0
; FloatMode: 240
; IeeeMode: 1
; LDSByteSize: 0 bytes/workgroup (compile time only)
; SGPRBlocks: 10
; VGPRBlocks: 3
; NumSGPRsForWavesPerEU: 84
; NumVGPRsForWavesPerEU: 28
; AccumOffset: 28
; Occupancy: 8
; WaveLimiterHint : 1
; COMPUTE_PGM_RSRC2:SCRATCH_EN: 0
; COMPUTE_PGM_RSRC2:USER_SGPR: 2
; COMPUTE_PGM_RSRC2:TRAP_HANDLER: 0
; COMPUTE_PGM_RSRC2:TGID_X_EN: 1
; COMPUTE_PGM_RSRC2:TGID_Y_EN: 0
; COMPUTE_PGM_RSRC2:TGID_Z_EN: 0
; COMPUTE_PGM_RSRC2:TIDIG_COMP_CNT: 0
; COMPUTE_PGM_RSRC3_GFX90A:ACCUM_OFFSET: 6
; COMPUTE_PGM_RSRC3_GFX90A:TG_SPLIT: 0
	.section	.text._ZN2at6native12cross_kernelIf16OffsetCalculatorILi3EjLb0EElEEviPT_PKS4_S7_T0_T1_S9_S9_,"axG",@progbits,_ZN2at6native12cross_kernelIf16OffsetCalculatorILi3EjLb0EElEEviPT_PKS4_S7_T0_T1_S9_S9_,comdat
	.protected	_ZN2at6native12cross_kernelIf16OffsetCalculatorILi3EjLb0EElEEviPT_PKS4_S7_T0_T1_S9_S9_ ; -- Begin function _ZN2at6native12cross_kernelIf16OffsetCalculatorILi3EjLb0EElEEviPT_PKS4_S7_T0_T1_S9_S9_
	.globl	_ZN2at6native12cross_kernelIf16OffsetCalculatorILi3EjLb0EElEEviPT_PKS4_S7_T0_T1_S9_S9_
	.p2align	8
	.type	_ZN2at6native12cross_kernelIf16OffsetCalculatorILi3EjLb0EElEEviPT_PKS4_S7_T0_T1_S9_S9_,@function
_ZN2at6native12cross_kernelIf16OffsetCalculatorILi3EjLb0EElEEviPT_PKS4_S7_T0_T1_S9_S9_: ; @_ZN2at6native12cross_kernelIf16OffsetCalculatorILi3EjLb0EElEEviPT_PKS4_S7_T0_T1_S9_S9_
; %bb.0:
	s_load_dword s34, s[0:1], 0x0
	s_load_dword s3, s[0:1], 0x1cc
	v_mov_b32_e32 v1, 0
	v_mov_b32_e32 v2, s2
	s_waitcnt lgkmcnt(0)
	s_ashr_i32 s35, s34, 31
	s_add_u32 s12, s0, 0x1c0
	s_addc_u32 s13, s1, 0
	s_and_b32 s3, s3, 0xffff
	v_mad_u64_u32 v[2:3], s[4:5], s3, v2, v[0:1]
	v_cmp_gt_i64_e32 vcc, s[34:35], v[2:3]
	s_and_saveexec_b64 s[4:5], vcc
	s_cbranch_execz .LBB12_17
; %bb.1:
	s_load_dwordx4 s[28:31], s[0:1], 0x8
	s_load_dwordx2 s[52:53], s[0:1], 0x18
	s_load_dwordx8 s[4:11], s[0:1], 0x20
	s_load_dwordx2 s[14:15], s[0:1], 0x1b8
	s_load_dwordx4 s[36:39], s[0:1], 0x1a8
	s_load_dword s2, s[12:13], 0x0
	s_load_dwordx4 s[40:43], s[0:1], 0xe4
	s_load_dwordx2 s[60:61], s[0:1], 0xf4
	s_waitcnt lgkmcnt(0)
	v_sub_co_u32_e64 v0, s[12:13], s4, 1
	s_xor_b64 s[54:55], s[12:13], -1
	s_add_u32 s56, s0, 36
	v_readfirstlane_b32 s11, v0
	s_addc_u32 s57, s1, 0
	s_min_u32 s12, s11, 15
	s_cmp_gt_u32 s4, 1
	s_cselect_b64 s[62:63], -1, 0
	s_add_i32 s12, s12, 1
	s_mov_b32 s11, s41
	s_mov_b32 s4, s9
	s_lshl_b64 s[64:65], s[14:15], 3
	s_and_b32 s9, s12, 3
	s_and_b32 s41, s12, 28
	s_cmp_lg_u32 s9, 0
	s_cselect_b64 s[66:67], -1, 0
	s_lshl_b64 s[68:69], s[38:39], 2
	s_lshl_b64 s[0:1], s[14:15], 2
	s_sub_u32 s72, 0, s0
	s_mov_b32 s59, 0
	s_mov_b32 s33, s42
	s_mul_i32 s58, s2, s3
	s_mov_b64 s[70:71], 0
	s_subb_u32 s73, 0, s1
	s_lshl_b64 s[74:75], s[36:37], 2
	v_cmp_lt_u32_e64 s[0:1], 1, v0
	v_cmp_ne_u32_e64 s[2:3], 2, v0
	s_branch .LBB12_3
.LBB12_2:                               ;   in Loop: Header=BB12_3 Depth=1
	v_mov_b32_e32 v5, v1
	v_lshl_add_u64 v[4:5], v[4:5], 2, s[30:31]
	v_mov_b32_e32 v7, v1
	v_lshl_add_u64 v[6:7], v[6:7], 2, s[52:53]
	v_lshl_add_u64 v[8:9], s[38:39], 2, v[4:5]
	global_load_dword v12, v[8:9], off
	v_lshl_add_u64 v[10:11], v[6:7], 0, s[64:65]
	v_lshl_add_u64 v[8:9], v[8:9], 0, s[68:69]
	global_load_dword v13, v[10:11], off
	global_load_dword v14, v[8:9], off
	v_lshl_add_u64 v[8:9], v[10:11], 0, s[72:73]
	global_load_dword v10, v[4:5], off
	global_load_dword v11, v[6:7], off
	;; [unrolled: 1-line block ×3, first 2 shown]
	v_lshl_add_u64 v[2:3], v[2:3], 0, s[58:59]
	v_lshl_add_u64 v[4:5], v[0:1], 2, s[28:29]
	v_cmp_le_i64_e32 vcc, s[34:35], v[2:3]
	v_lshl_add_u64 v[6:7], s[36:37], 2, v[4:5]
	s_or_b64 s[70:71], vcc, s[70:71]
	v_lshl_add_u64 v[8:9], v[6:7], 0, s[74:75]
	s_waitcnt vmcnt(2)
	v_mul_f32_e32 v0, v13, v10
	s_waitcnt vmcnt(1)
	v_mul_f32_e32 v16, v12, v11
	;; [unrolled: 2-line block ×3, first 2 shown]
	v_fma_f32 v0, v14, v11, -v0
	v_fma_f32 v11, v12, v13, -v17
	;; [unrolled: 1-line block ×3, first 2 shown]
	global_store_dword v[4:5], v11, off
	global_store_dword v[6:7], v0, off
	;; [unrolled: 1-line block ×3, first 2 shown]
	s_andn2_b64 exec, exec, s[70:71]
	s_cbranch_execz .LBB12_17
.LBB12_3:                               ; =>This Loop Header: Depth=1
                                        ;     Child Loop BB12_7 Depth 2
                                        ;     Child Loop BB12_11 Depth 2
	s_andn2_b64 vcc, exec, s[0:1]
	s_mov_b64 s[12:13], -1
                                        ; implicit-def: $vgpr6
                                        ; implicit-def: $vgpr4
	s_cbranch_vccnz .LBB12_14
; %bb.4:                                ;   in Loop: Header=BB12_3 Depth=1
	v_mov_b32_e32 v6, 0
	s_andn2_b64 vcc, exec, s[54:55]
	v_mov_b32_e32 v4, 0
	v_mov_b32_e32 v0, 0
	s_cbranch_vccnz .LBB12_13
; %bb.5:                                ;   in Loop: Header=BB12_3 Depth=1
	s_andn2_b64 vcc, exec, s[2:3]
	s_cbranch_vccnz .LBB12_9
; %bb.6:                                ;   in Loop: Header=BB12_3 Depth=1
	v_mov_b32_e32 v8, 0
	s_mov_b32 s42, 0
	s_mov_b64 s[76:77], s[56:57]
	v_mov_b32_e32 v0, v2
	v_mov_b32_e32 v4, 0
	;; [unrolled: 1-line block ×3, first 2 shown]
.LBB12_7:                               ;   Parent Loop BB12_3 Depth=1
                                        ; =>  This Inner Loop Header: Depth=2
	s_load_dwordx8 s[12:19], s[76:77], 0x0
	s_load_dwordx4 s[44:47], s[76:77], 0x20
	s_load_dwordx4 s[48:51], s[76:77], 0xe0
	s_load_dwordx8 s[20:27], s[76:77], 0xc0
	s_add_i32 s42, s42, 4
	s_waitcnt lgkmcnt(0)
	v_mul_hi_u32 v5, s13, v0
	v_add_u32_e32 v5, v0, v5
	v_lshrrev_b32_e32 v5, s14, v5
	v_mul_lo_u32 v7, v5, s12
	v_mul_hi_u32 v9, s16, v5
	v_sub_u32_e32 v0, v0, v7
	v_add_u32_e32 v7, v5, v9
	v_lshrrev_b32_e32 v7, s17, v7
	v_mul_lo_u32 v11, v7, s15
	v_mul_hi_u32 v12, s19, v7
	v_sub_u32_e32 v5, v5, v11
	v_add_u32_e32 v11, v7, v12
	v_mul_lo_u32 v9, v0, s20
	v_mul_lo_u32 v10, v0, s22
	;; [unrolled: 1-line block ×6, first 2 shown]
	v_lshrrev_b32_e32 v11, s44, v11
	v_add3_u32 v4, v0, v4, v5
	v_add3_u32 v5, v10, v6, v13
	v_mul_lo_u32 v0, v11, s18
	v_mul_hi_u32 v6, s46, v11
	v_sub_u32_e32 v0, v7, v0
	v_add_u32_e32 v6, v11, v6
	v_add3_u32 v8, v9, v8, v12
	v_mul_lo_u32 v7, v0, s26
	v_mul_lo_u32 v9, v0, s27
	;; [unrolled: 1-line block ×3, first 2 shown]
	v_lshrrev_b32_e32 v0, s47, v6
	v_mul_lo_u32 v6, v0, s45
	s_add_u32 s76, s76, 48
	v_sub_u32_e32 v6, v11, v6
	s_addc_u32 s77, s77, 0
	v_mul_lo_u32 v11, v6, s49
	v_mul_lo_u32 v12, v6, s50
	;; [unrolled: 1-line block ×3, first 2 shown]
	s_cmp_lg_u32 s41, s42
	v_add3_u32 v8, v7, v8, v11
	v_add3_u32 v6, v10, v5, v6
	;; [unrolled: 1-line block ×3, first 2 shown]
	s_cbranch_scc1 .LBB12_7
; %bb.8:                                ;   in Loop: Header=BB12_3 Depth=1
	v_mov_b32_e32 v5, v6
	s_mov_b32 s12, s41
	s_andn2_b64 vcc, exec, s[66:67]
	s_cbranch_vccz .LBB12_10
	s_branch .LBB12_12
.LBB12_9:                               ;   in Loop: Header=BB12_3 Depth=1
	v_mov_b32_e32 v0, v1
	s_mov_b32 s12, 0
	v_mov_b32_e32 v8, 0
                                        ; implicit-def: $vgpr6
	v_mov_b64_e32 v[4:5], v[0:1]
	v_mov_b32_e32 v0, v2
	s_andn2_b64 vcc, exec, s[66:67]
	s_cbranch_vccnz .LBB12_12
.LBB12_10:                              ;   in Loop: Header=BB12_3 Depth=1
	s_mul_i32 s12, s12, 12
	s_add_u32 s12, s56, s12
	s_addc_u32 s13, s57, 0
	s_mov_b32 s14, s9
.LBB12_11:                              ;   Parent Loop BB12_3 Depth=1
                                        ; =>  This Inner Loop Header: Depth=2
	s_load_dwordx2 s[16:17], s[12:13], 0x0
	s_load_dword s15, s[12:13], 0x8
	s_load_dwordx2 s[18:19], s[12:13], 0xc0
	s_load_dword s20, s[12:13], 0xc8
	v_mov_b32_e32 v6, v5
	s_waitcnt lgkmcnt(0)
	v_mul_hi_u32 v5, s17, v0
	v_add_u32_e32 v5, v0, v5
	v_lshrrev_b32_e32 v5, s15, v5
	v_mul_lo_u32 v7, v5, s16
	s_add_u32 s12, s12, 12
	v_sub_u32_e32 v10, v0, v7
	s_addc_u32 s13, s13, 0
	s_add_i32 s14, s14, -1
	v_mov_b32_e32 v0, v5
	v_mad_u64_u32 v[6:7], s[16:17], v10, s20, v[6:7]
	v_mad_u64_u32 v[4:5], s[16:17], v10, s19, v[4:5]
	s_cmp_lg_u32 s14, 0
	v_mad_u64_u32 v[8:9], s[16:17], v10, s18, v[8:9]
	v_mov_b32_e32 v5, v6
	s_cbranch_scc1 .LBB12_11
.LBB12_12:                              ;   in Loop: Header=BB12_3 Depth=1
	v_mov_b32_e32 v0, v8
.LBB12_13:                              ;   in Loop: Header=BB12_3 Depth=1
	s_mov_b64 s[12:13], 0
.LBB12_14:                              ;   in Loop: Header=BB12_3 Depth=1
	s_andn2_b64 vcc, exec, s[12:13]
	s_cbranch_vccnz .LBB12_2
; %bb.15:                               ;   in Loop: Header=BB12_3 Depth=1
	v_mul_lo_u32 v0, v3, s6
	v_mul_hi_u32 v4, v2, s6
	v_add3_u32 v0, v4, v0, v2
	v_lshrrev_b32_e32 v5, s7, v0
	v_mul_lo_u32 v0, v5, s5
	v_sub_u32_e32 v4, v2, v0
	v_mul_lo_u32 v0, v4, s40
	v_mul_lo_u32 v6, v4, s33
	s_andn2_b64 vcc, exec, s[62:63]
	v_mul_lo_u32 v4, v4, s11
	s_cbranch_vccnz .LBB12_2
; %bb.16:                               ;   in Loop: Header=BB12_3 Depth=1
	v_mul_hi_u32 v7, s4, v5
	v_add_u32_e32 v7, v5, v7
	v_lshrrev_b32_e32 v7, s10, v7
	v_mul_lo_u32 v7, v7, s8
	v_sub_u32_e32 v7, v5, v7
	v_mad_u64_u32 v[8:9], s[12:13], v7, s43, v[0:1]
	v_mad_u64_u32 v[4:5], s[12:13], v7, s60, v[4:5]
	v_mad_u64_u32 v[6:7], s[12:13], v7, s61, v[6:7]
	v_mov_b32_e32 v0, v8
	s_branch .LBB12_2
.LBB12_17:
	s_endpgm
	.section	.rodata,"a",@progbits
	.p2align	6, 0x0
	.amdhsa_kernel _ZN2at6native12cross_kernelIf16OffsetCalculatorILi3EjLb0EElEEviPT_PKS4_S7_T0_T1_S9_S9_
		.amdhsa_group_segment_fixed_size 0
		.amdhsa_private_segment_fixed_size 0
		.amdhsa_kernarg_size 704
		.amdhsa_user_sgpr_count 2
		.amdhsa_user_sgpr_dispatch_ptr 0
		.amdhsa_user_sgpr_queue_ptr 0
		.amdhsa_user_sgpr_kernarg_segment_ptr 1
		.amdhsa_user_sgpr_dispatch_id 0
		.amdhsa_user_sgpr_kernarg_preload_length 0
		.amdhsa_user_sgpr_kernarg_preload_offset 0
		.amdhsa_user_sgpr_private_segment_size 0
		.amdhsa_uses_dynamic_stack 0
		.amdhsa_enable_private_segment 0
		.amdhsa_system_sgpr_workgroup_id_x 1
		.amdhsa_system_sgpr_workgroup_id_y 0
		.amdhsa_system_sgpr_workgroup_id_z 0
		.amdhsa_system_sgpr_workgroup_info 0
		.amdhsa_system_vgpr_workitem_id 0
		.amdhsa_next_free_vgpr 18
		.amdhsa_next_free_sgpr 78
		.amdhsa_accum_offset 20
		.amdhsa_reserve_vcc 1
		.amdhsa_float_round_mode_32 0
		.amdhsa_float_round_mode_16_64 0
		.amdhsa_float_denorm_mode_32 3
		.amdhsa_float_denorm_mode_16_64 3
		.amdhsa_dx10_clamp 1
		.amdhsa_ieee_mode 1
		.amdhsa_fp16_overflow 0
		.amdhsa_tg_split 0
		.amdhsa_exception_fp_ieee_invalid_op 0
		.amdhsa_exception_fp_denorm_src 0
		.amdhsa_exception_fp_ieee_div_zero 0
		.amdhsa_exception_fp_ieee_overflow 0
		.amdhsa_exception_fp_ieee_underflow 0
		.amdhsa_exception_fp_ieee_inexact 0
		.amdhsa_exception_int_div_zero 0
	.end_amdhsa_kernel
	.section	.text._ZN2at6native12cross_kernelIf16OffsetCalculatorILi3EjLb0EElEEviPT_PKS4_S7_T0_T1_S9_S9_,"axG",@progbits,_ZN2at6native12cross_kernelIf16OffsetCalculatorILi3EjLb0EElEEviPT_PKS4_S7_T0_T1_S9_S9_,comdat
.Lfunc_end12:
	.size	_ZN2at6native12cross_kernelIf16OffsetCalculatorILi3EjLb0EElEEviPT_PKS4_S7_T0_T1_S9_S9_, .Lfunc_end12-_ZN2at6native12cross_kernelIf16OffsetCalculatorILi3EjLb0EElEEviPT_PKS4_S7_T0_T1_S9_S9_
                                        ; -- End function
	.set _ZN2at6native12cross_kernelIf16OffsetCalculatorILi3EjLb0EElEEviPT_PKS4_S7_T0_T1_S9_S9_.num_vgpr, 18
	.set _ZN2at6native12cross_kernelIf16OffsetCalculatorILi3EjLb0EElEEviPT_PKS4_S7_T0_T1_S9_S9_.num_agpr, 0
	.set _ZN2at6native12cross_kernelIf16OffsetCalculatorILi3EjLb0EElEEviPT_PKS4_S7_T0_T1_S9_S9_.numbered_sgpr, 78
	.set _ZN2at6native12cross_kernelIf16OffsetCalculatorILi3EjLb0EElEEviPT_PKS4_S7_T0_T1_S9_S9_.num_named_barrier, 0
	.set _ZN2at6native12cross_kernelIf16OffsetCalculatorILi3EjLb0EElEEviPT_PKS4_S7_T0_T1_S9_S9_.private_seg_size, 0
	.set _ZN2at6native12cross_kernelIf16OffsetCalculatorILi3EjLb0EElEEviPT_PKS4_S7_T0_T1_S9_S9_.uses_vcc, 1
	.set _ZN2at6native12cross_kernelIf16OffsetCalculatorILi3EjLb0EElEEviPT_PKS4_S7_T0_T1_S9_S9_.uses_flat_scratch, 0
	.set _ZN2at6native12cross_kernelIf16OffsetCalculatorILi3EjLb0EElEEviPT_PKS4_S7_T0_T1_S9_S9_.has_dyn_sized_stack, 0
	.set _ZN2at6native12cross_kernelIf16OffsetCalculatorILi3EjLb0EElEEviPT_PKS4_S7_T0_T1_S9_S9_.has_recursion, 0
	.set _ZN2at6native12cross_kernelIf16OffsetCalculatorILi3EjLb0EElEEviPT_PKS4_S7_T0_T1_S9_S9_.has_indirect_call, 0
	.section	.AMDGPU.csdata,"",@progbits
; Kernel info:
; codeLenInByte = 1200
; TotalNumSgprs: 84
; NumVgprs: 18
; NumAgprs: 0
; TotalNumVgprs: 18
; ScratchSize: 0
; MemoryBound: 0
; FloatMode: 240
; IeeeMode: 1
; LDSByteSize: 0 bytes/workgroup (compile time only)
; SGPRBlocks: 10
; VGPRBlocks: 2
; NumSGPRsForWavesPerEU: 84
; NumVGPRsForWavesPerEU: 18
; AccumOffset: 20
; Occupancy: 8
; WaveLimiterHint : 1
; COMPUTE_PGM_RSRC2:SCRATCH_EN: 0
; COMPUTE_PGM_RSRC2:USER_SGPR: 2
; COMPUTE_PGM_RSRC2:TRAP_HANDLER: 0
; COMPUTE_PGM_RSRC2:TGID_X_EN: 1
; COMPUTE_PGM_RSRC2:TGID_Y_EN: 0
; COMPUTE_PGM_RSRC2:TGID_Z_EN: 0
; COMPUTE_PGM_RSRC2:TIDIG_COMP_CNT: 0
; COMPUTE_PGM_RSRC3_GFX90A:ACCUM_OFFSET: 4
; COMPUTE_PGM_RSRC3_GFX90A:TG_SPLIT: 0
	.section	.text._ZN2at6native12cross_kernelIf16OffsetCalculatorILi3EjLb0EEiEEviPT_PKS4_S7_T0_T1_S9_S9_,"axG",@progbits,_ZN2at6native12cross_kernelIf16OffsetCalculatorILi3EjLb0EEiEEviPT_PKS4_S7_T0_T1_S9_S9_,comdat
	.protected	_ZN2at6native12cross_kernelIf16OffsetCalculatorILi3EjLb0EEiEEviPT_PKS4_S7_T0_T1_S9_S9_ ; -- Begin function _ZN2at6native12cross_kernelIf16OffsetCalculatorILi3EjLb0EEiEEviPT_PKS4_S7_T0_T1_S9_S9_
	.globl	_ZN2at6native12cross_kernelIf16OffsetCalculatorILi3EjLb0EEiEEviPT_PKS4_S7_T0_T1_S9_S9_
	.p2align	8
	.type	_ZN2at6native12cross_kernelIf16OffsetCalculatorILi3EjLb0EEiEEviPT_PKS4_S7_T0_T1_S9_S9_,@function
_ZN2at6native12cross_kernelIf16OffsetCalculatorILi3EjLb0EEiEEviPT_PKS4_S7_T0_T1_S9_S9_: ; @_ZN2at6native12cross_kernelIf16OffsetCalculatorILi3EjLb0EEiEEviPT_PKS4_S7_T0_T1_S9_S9_
; %bb.0:
	s_load_dword s34, s[0:1], 0x0
	s_load_dword s3, s[0:1], 0x1bc
	v_mov_b32_e32 v1, 0
	v_mov_b32_e32 v2, s2
	s_waitcnt lgkmcnt(0)
	s_ashr_i32 s35, s34, 31
	s_add_u32 s12, s0, 0x1b0
	s_addc_u32 s13, s1, 0
	s_and_b32 s3, s3, 0xffff
	v_mad_u64_u32 v[2:3], s[4:5], s3, v2, v[0:1]
	v_cmp_gt_i64_e32 vcc, s[34:35], v[2:3]
	s_and_saveexec_b64 s[4:5], vcc
	s_cbranch_execz .LBB13_17
; %bb.1:
	s_load_dwordx8 s[4:11], s[0:1], 0x20
	s_load_dwordx4 s[28:31], s[0:1], 0x8
	s_load_dwordx2 s[52:53], s[0:1], 0x18
	s_load_dwordx4 s[36:39], s[0:1], 0x1a4
	s_load_dword s2, s[12:13], 0x0
	s_waitcnt lgkmcnt(0)
	v_sub_co_u32_e64 v0, s[12:13], s4, 1
	s_xor_b64 s[54:55], s[12:13], -1
	s_load_dwordx4 s[40:43], s[0:1], 0xe4
	s_load_dwordx2 s[60:61], s[0:1], 0xf4
	s_add_u32 s56, s0, 36
	v_readfirstlane_b32 s11, v0
	s_addc_u32 s57, s1, 0
	s_min_u32 s12, s11, 15
	s_cmp_gt_u32 s4, 1
	s_cselect_b64 s[62:63], -1, 0
	s_lshl_b32 s66, s38, 1
	s_add_i32 s12, s12, 1
	s_waitcnt lgkmcnt(0)
	s_mov_b32 s11, s41
	s_mov_b32 s4, s9
	s_ashr_i32 s65, s37, 31
	s_mov_b32 s64, s37
	s_ashr_i32 s67, s66, 31
	s_ashr_i32 s37, s36, 31
	s_and_b32 s9, s12, 3
	s_and_b32 s41, s12, 28
	s_cmp_lg_u32 s9, 0
	s_cselect_b64 s[68:69], -1, 0
	s_ashr_i32 s39, s38, 31
	s_lshl_b64 s[70:71], s[64:65], 2
	s_lshl_b64 s[0:1], s[38:39], 2
	s_sub_u32 s72, 0, s0
	s_mov_b32 s59, 0
	s_mov_b32 s33, s42
	s_mul_i32 s58, s2, s3
	s_mov_b64 s[38:39], 0
	s_subb_u32 s73, 0, s1
	s_lshl_b64 s[74:75], s[36:37], 2
	v_cmp_lt_u32_e64 s[0:1], 1, v0
	v_cmp_ne_u32_e64 s[2:3], 2, v0
	s_branch .LBB13_3
.LBB13_2:                               ;   in Loop: Header=BB13_3 Depth=1
	v_mov_b32_e32 v5, v1
	v_lshl_add_u64 v[4:5], v[4:5], 2, s[30:31]
	v_mov_b32_e32 v7, v1
	v_lshl_add_u64 v[6:7], v[6:7], 2, s[52:53]
	v_lshl_add_u64 v[8:9], s[64:65], 2, v[4:5]
	global_load_dword v12, v[8:9], off
	v_lshl_add_u64 v[10:11], s[66:67], 2, v[6:7]
	v_lshl_add_u64 v[8:9], v[8:9], 0, s[70:71]
	global_load_dword v13, v[10:11], off
	global_load_dword v14, v[8:9], off
	v_lshl_add_u64 v[8:9], v[10:11], 0, s[72:73]
	global_load_dword v10, v[4:5], off
	global_load_dword v11, v[6:7], off
	global_load_dword v15, v[8:9], off
	v_lshl_add_u64 v[2:3], v[2:3], 0, s[58:59]
	v_lshl_add_u64 v[4:5], v[0:1], 2, s[28:29]
	v_cmp_le_i64_e32 vcc, s[34:35], v[2:3]
	v_lshl_add_u64 v[6:7], s[36:37], 2, v[4:5]
	s_or_b64 s[38:39], vcc, s[38:39]
	v_lshl_add_u64 v[8:9], v[6:7], 0, s[74:75]
	s_waitcnt vmcnt(2)
	v_mul_f32_e32 v0, v13, v10
	s_waitcnt vmcnt(1)
	v_mul_f32_e32 v16, v12, v11
	;; [unrolled: 2-line block ×3, first 2 shown]
	v_fma_f32 v0, v14, v11, -v0
	v_fma_f32 v11, v12, v13, -v17
	;; [unrolled: 1-line block ×3, first 2 shown]
	global_store_dword v[4:5], v11, off
	global_store_dword v[6:7], v0, off
	;; [unrolled: 1-line block ×3, first 2 shown]
	s_andn2_b64 exec, exec, s[38:39]
	s_cbranch_execz .LBB13_17
.LBB13_3:                               ; =>This Loop Header: Depth=1
                                        ;     Child Loop BB13_7 Depth 2
                                        ;     Child Loop BB13_11 Depth 2
	s_andn2_b64 vcc, exec, s[0:1]
	s_mov_b64 s[12:13], -1
                                        ; implicit-def: $vgpr6
                                        ; implicit-def: $vgpr4
	s_cbranch_vccnz .LBB13_14
; %bb.4:                                ;   in Loop: Header=BB13_3 Depth=1
	v_mov_b32_e32 v6, 0
	s_andn2_b64 vcc, exec, s[54:55]
	v_mov_b32_e32 v4, 0
	v_mov_b32_e32 v0, 0
	s_cbranch_vccnz .LBB13_13
; %bb.5:                                ;   in Loop: Header=BB13_3 Depth=1
	s_andn2_b64 vcc, exec, s[2:3]
	s_cbranch_vccnz .LBB13_9
; %bb.6:                                ;   in Loop: Header=BB13_3 Depth=1
	v_mov_b32_e32 v8, 0
	s_mov_b32 s42, 0
	s_mov_b64 s[76:77], s[56:57]
	v_mov_b32_e32 v0, v2
	v_mov_b32_e32 v4, 0
	;; [unrolled: 1-line block ×3, first 2 shown]
.LBB13_7:                               ;   Parent Loop BB13_3 Depth=1
                                        ; =>  This Inner Loop Header: Depth=2
	s_load_dwordx8 s[12:19], s[76:77], 0x0
	s_load_dwordx4 s[44:47], s[76:77], 0x20
	s_load_dwordx4 s[48:51], s[76:77], 0xe0
	s_load_dwordx8 s[20:27], s[76:77], 0xc0
	s_add_i32 s42, s42, 4
	s_waitcnt lgkmcnt(0)
	v_mul_hi_u32 v5, s13, v0
	v_add_u32_e32 v5, v0, v5
	v_lshrrev_b32_e32 v5, s14, v5
	v_mul_lo_u32 v7, v5, s12
	v_mul_hi_u32 v9, s16, v5
	v_sub_u32_e32 v0, v0, v7
	v_add_u32_e32 v7, v5, v9
	v_lshrrev_b32_e32 v7, s17, v7
	v_mul_lo_u32 v11, v7, s15
	v_mul_hi_u32 v12, s19, v7
	v_sub_u32_e32 v5, v5, v11
	v_add_u32_e32 v11, v7, v12
	v_mul_lo_u32 v9, v0, s20
	v_mul_lo_u32 v10, v0, s22
	;; [unrolled: 1-line block ×6, first 2 shown]
	v_lshrrev_b32_e32 v11, s44, v11
	v_add3_u32 v4, v0, v4, v5
	v_add3_u32 v5, v10, v6, v13
	v_mul_lo_u32 v0, v11, s18
	v_mul_hi_u32 v6, s46, v11
	v_sub_u32_e32 v0, v7, v0
	v_add_u32_e32 v6, v11, v6
	v_add3_u32 v8, v9, v8, v12
	v_mul_lo_u32 v7, v0, s26
	v_mul_lo_u32 v9, v0, s27
	;; [unrolled: 1-line block ×3, first 2 shown]
	v_lshrrev_b32_e32 v0, s47, v6
	v_mul_lo_u32 v6, v0, s45
	s_add_u32 s76, s76, 48
	v_sub_u32_e32 v6, v11, v6
	s_addc_u32 s77, s77, 0
	v_mul_lo_u32 v11, v6, s49
	v_mul_lo_u32 v12, v6, s50
	;; [unrolled: 1-line block ×3, first 2 shown]
	s_cmp_lg_u32 s41, s42
	v_add3_u32 v8, v7, v8, v11
	v_add3_u32 v6, v10, v5, v6
	;; [unrolled: 1-line block ×3, first 2 shown]
	s_cbranch_scc1 .LBB13_7
; %bb.8:                                ;   in Loop: Header=BB13_3 Depth=1
	v_mov_b32_e32 v5, v6
	s_mov_b32 s12, s41
	s_andn2_b64 vcc, exec, s[68:69]
	s_cbranch_vccz .LBB13_10
	s_branch .LBB13_12
.LBB13_9:                               ;   in Loop: Header=BB13_3 Depth=1
	v_mov_b32_e32 v0, v1
	s_mov_b32 s12, 0
	v_mov_b32_e32 v8, 0
                                        ; implicit-def: $vgpr6
	v_mov_b64_e32 v[4:5], v[0:1]
	v_mov_b32_e32 v0, v2
	s_andn2_b64 vcc, exec, s[68:69]
	s_cbranch_vccnz .LBB13_12
.LBB13_10:                              ;   in Loop: Header=BB13_3 Depth=1
	s_mul_i32 s12, s12, 12
	s_add_u32 s12, s56, s12
	s_addc_u32 s13, s57, 0
	s_mov_b32 s14, s9
.LBB13_11:                              ;   Parent Loop BB13_3 Depth=1
                                        ; =>  This Inner Loop Header: Depth=2
	s_load_dwordx2 s[16:17], s[12:13], 0x0
	s_load_dword s15, s[12:13], 0x8
	s_load_dwordx2 s[18:19], s[12:13], 0xc0
	s_load_dword s20, s[12:13], 0xc8
	v_mov_b32_e32 v6, v5
	s_waitcnt lgkmcnt(0)
	v_mul_hi_u32 v5, s17, v0
	v_add_u32_e32 v5, v0, v5
	v_lshrrev_b32_e32 v5, s15, v5
	v_mul_lo_u32 v7, v5, s16
	s_add_u32 s12, s12, 12
	v_sub_u32_e32 v10, v0, v7
	s_addc_u32 s13, s13, 0
	s_add_i32 s14, s14, -1
	v_mov_b32_e32 v0, v5
	v_mad_u64_u32 v[6:7], s[16:17], v10, s20, v[6:7]
	v_mad_u64_u32 v[4:5], s[16:17], v10, s19, v[4:5]
	s_cmp_lg_u32 s14, 0
	v_mad_u64_u32 v[8:9], s[16:17], v10, s18, v[8:9]
	v_mov_b32_e32 v5, v6
	s_cbranch_scc1 .LBB13_11
.LBB13_12:                              ;   in Loop: Header=BB13_3 Depth=1
	v_mov_b32_e32 v0, v8
.LBB13_13:                              ;   in Loop: Header=BB13_3 Depth=1
	s_mov_b64 s[12:13], 0
.LBB13_14:                              ;   in Loop: Header=BB13_3 Depth=1
	s_andn2_b64 vcc, exec, s[12:13]
	s_cbranch_vccnz .LBB13_2
; %bb.15:                               ;   in Loop: Header=BB13_3 Depth=1
	v_mul_lo_u32 v0, v3, s6
	v_mul_hi_u32 v4, v2, s6
	v_add3_u32 v0, v4, v0, v2
	v_lshrrev_b32_e32 v5, s7, v0
	v_mul_lo_u32 v0, v5, s5
	v_sub_u32_e32 v4, v2, v0
	v_mul_lo_u32 v0, v4, s40
	v_mul_lo_u32 v6, v4, s33
	s_andn2_b64 vcc, exec, s[62:63]
	v_mul_lo_u32 v4, v4, s11
	s_cbranch_vccnz .LBB13_2
; %bb.16:                               ;   in Loop: Header=BB13_3 Depth=1
	v_mul_hi_u32 v7, s4, v5
	v_add_u32_e32 v7, v5, v7
	v_lshrrev_b32_e32 v7, s10, v7
	v_mul_lo_u32 v7, v7, s8
	v_sub_u32_e32 v7, v5, v7
	v_mad_u64_u32 v[8:9], s[12:13], v7, s43, v[0:1]
	v_mad_u64_u32 v[4:5], s[12:13], v7, s60, v[4:5]
	;; [unrolled: 1-line block ×3, first 2 shown]
	v_mov_b32_e32 v0, v8
	s_branch .LBB13_2
.LBB13_17:
	s_endpgm
	.section	.rodata,"a",@progbits
	.p2align	6, 0x0
	.amdhsa_kernel _ZN2at6native12cross_kernelIf16OffsetCalculatorILi3EjLb0EEiEEviPT_PKS4_S7_T0_T1_S9_S9_
		.amdhsa_group_segment_fixed_size 0
		.amdhsa_private_segment_fixed_size 0
		.amdhsa_kernarg_size 688
		.amdhsa_user_sgpr_count 2
		.amdhsa_user_sgpr_dispatch_ptr 0
		.amdhsa_user_sgpr_queue_ptr 0
		.amdhsa_user_sgpr_kernarg_segment_ptr 1
		.amdhsa_user_sgpr_dispatch_id 0
		.amdhsa_user_sgpr_kernarg_preload_length 0
		.amdhsa_user_sgpr_kernarg_preload_offset 0
		.amdhsa_user_sgpr_private_segment_size 0
		.amdhsa_uses_dynamic_stack 0
		.amdhsa_enable_private_segment 0
		.amdhsa_system_sgpr_workgroup_id_x 1
		.amdhsa_system_sgpr_workgroup_id_y 0
		.amdhsa_system_sgpr_workgroup_id_z 0
		.amdhsa_system_sgpr_workgroup_info 0
		.amdhsa_system_vgpr_workitem_id 0
		.amdhsa_next_free_vgpr 18
		.amdhsa_next_free_sgpr 78
		.amdhsa_accum_offset 20
		.amdhsa_reserve_vcc 1
		.amdhsa_float_round_mode_32 0
		.amdhsa_float_round_mode_16_64 0
		.amdhsa_float_denorm_mode_32 3
		.amdhsa_float_denorm_mode_16_64 3
		.amdhsa_dx10_clamp 1
		.amdhsa_ieee_mode 1
		.amdhsa_fp16_overflow 0
		.amdhsa_tg_split 0
		.amdhsa_exception_fp_ieee_invalid_op 0
		.amdhsa_exception_fp_denorm_src 0
		.amdhsa_exception_fp_ieee_div_zero 0
		.amdhsa_exception_fp_ieee_overflow 0
		.amdhsa_exception_fp_ieee_underflow 0
		.amdhsa_exception_fp_ieee_inexact 0
		.amdhsa_exception_int_div_zero 0
	.end_amdhsa_kernel
	.section	.text._ZN2at6native12cross_kernelIf16OffsetCalculatorILi3EjLb0EEiEEviPT_PKS4_S7_T0_T1_S9_S9_,"axG",@progbits,_ZN2at6native12cross_kernelIf16OffsetCalculatorILi3EjLb0EEiEEviPT_PKS4_S7_T0_T1_S9_S9_,comdat
.Lfunc_end13:
	.size	_ZN2at6native12cross_kernelIf16OffsetCalculatorILi3EjLb0EEiEEviPT_PKS4_S7_T0_T1_S9_S9_, .Lfunc_end13-_ZN2at6native12cross_kernelIf16OffsetCalculatorILi3EjLb0EEiEEviPT_PKS4_S7_T0_T1_S9_S9_
                                        ; -- End function
	.set _ZN2at6native12cross_kernelIf16OffsetCalculatorILi3EjLb0EEiEEviPT_PKS4_S7_T0_T1_S9_S9_.num_vgpr, 18
	.set _ZN2at6native12cross_kernelIf16OffsetCalculatorILi3EjLb0EEiEEviPT_PKS4_S7_T0_T1_S9_S9_.num_agpr, 0
	.set _ZN2at6native12cross_kernelIf16OffsetCalculatorILi3EjLb0EEiEEviPT_PKS4_S7_T0_T1_S9_S9_.numbered_sgpr, 78
	.set _ZN2at6native12cross_kernelIf16OffsetCalculatorILi3EjLb0EEiEEviPT_PKS4_S7_T0_T1_S9_S9_.num_named_barrier, 0
	.set _ZN2at6native12cross_kernelIf16OffsetCalculatorILi3EjLb0EEiEEviPT_PKS4_S7_T0_T1_S9_S9_.private_seg_size, 0
	.set _ZN2at6native12cross_kernelIf16OffsetCalculatorILi3EjLb0EEiEEviPT_PKS4_S7_T0_T1_S9_S9_.uses_vcc, 1
	.set _ZN2at6native12cross_kernelIf16OffsetCalculatorILi3EjLb0EEiEEviPT_PKS4_S7_T0_T1_S9_S9_.uses_flat_scratch, 0
	.set _ZN2at6native12cross_kernelIf16OffsetCalculatorILi3EjLb0EEiEEviPT_PKS4_S7_T0_T1_S9_S9_.has_dyn_sized_stack, 0
	.set _ZN2at6native12cross_kernelIf16OffsetCalculatorILi3EjLb0EEiEEviPT_PKS4_S7_T0_T1_S9_S9_.has_recursion, 0
	.set _ZN2at6native12cross_kernelIf16OffsetCalculatorILi3EjLb0EEiEEviPT_PKS4_S7_T0_T1_S9_S9_.has_indirect_call, 0
	.section	.AMDGPU.csdata,"",@progbits
; Kernel info:
; codeLenInByte = 1216
; TotalNumSgprs: 84
; NumVgprs: 18
; NumAgprs: 0
; TotalNumVgprs: 18
; ScratchSize: 0
; MemoryBound: 0
; FloatMode: 240
; IeeeMode: 1
; LDSByteSize: 0 bytes/workgroup (compile time only)
; SGPRBlocks: 10
; VGPRBlocks: 2
; NumSGPRsForWavesPerEU: 84
; NumVGPRsForWavesPerEU: 18
; AccumOffset: 20
; Occupancy: 8
; WaveLimiterHint : 1
; COMPUTE_PGM_RSRC2:SCRATCH_EN: 0
; COMPUTE_PGM_RSRC2:USER_SGPR: 2
; COMPUTE_PGM_RSRC2:TRAP_HANDLER: 0
; COMPUTE_PGM_RSRC2:TGID_X_EN: 1
; COMPUTE_PGM_RSRC2:TGID_Y_EN: 0
; COMPUTE_PGM_RSRC2:TGID_Z_EN: 0
; COMPUTE_PGM_RSRC2:TIDIG_COMP_CNT: 0
; COMPUTE_PGM_RSRC3_GFX90A:ACCUM_OFFSET: 4
; COMPUTE_PGM_RSRC3_GFX90A:TG_SPLIT: 0
	.section	.text._ZN2at6native12cross_kernelIN3c107complexIdEE16OffsetCalculatorILi3EjLb0EElEEviPT_PKS7_SA_T0_T1_SC_SC_,"axG",@progbits,_ZN2at6native12cross_kernelIN3c107complexIdEE16OffsetCalculatorILi3EjLb0EElEEviPT_PKS7_SA_T0_T1_SC_SC_,comdat
	.protected	_ZN2at6native12cross_kernelIN3c107complexIdEE16OffsetCalculatorILi3EjLb0EElEEviPT_PKS7_SA_T0_T1_SC_SC_ ; -- Begin function _ZN2at6native12cross_kernelIN3c107complexIdEE16OffsetCalculatorILi3EjLb0EElEEviPT_PKS7_SA_T0_T1_SC_SC_
	.globl	_ZN2at6native12cross_kernelIN3c107complexIdEE16OffsetCalculatorILi3EjLb0EElEEviPT_PKS7_SA_T0_T1_SC_SC_
	.p2align	8
	.type	_ZN2at6native12cross_kernelIN3c107complexIdEE16OffsetCalculatorILi3EjLb0EElEEviPT_PKS7_SA_T0_T1_SC_SC_,@function
_ZN2at6native12cross_kernelIN3c107complexIdEE16OffsetCalculatorILi3EjLb0EElEEviPT_PKS7_SA_T0_T1_SC_SC_: ; @_ZN2at6native12cross_kernelIN3c107complexIdEE16OffsetCalculatorILi3EjLb0EElEEviPT_PKS7_SA_T0_T1_SC_SC_
; %bb.0:
	s_load_dword s34, s[0:1], 0x0
	s_load_dword s3, s[0:1], 0x1cc
	v_mov_b32_e32 v1, 0
	v_mov_b32_e32 v2, s2
	s_waitcnt lgkmcnt(0)
	s_ashr_i32 s35, s34, 31
	s_add_u32 s12, s0, 0x1c0
	s_addc_u32 s13, s1, 0
	s_and_b32 s3, s3, 0xffff
	v_mad_u64_u32 v[2:3], s[4:5], s3, v2, v[0:1]
	v_cmp_gt_i64_e32 vcc, s[34:35], v[2:3]
	s_and_saveexec_b64 s[4:5], vcc
	s_cbranch_execz .LBB14_17
; %bb.1:
	s_load_dwordx4 s[28:31], s[0:1], 0x8
	s_load_dwordx2 s[52:53], s[0:1], 0x18
	s_load_dwordx8 s[4:11], s[0:1], 0x20
	s_load_dwordx2 s[14:15], s[0:1], 0x1b8
	s_load_dwordx4 s[36:39], s[0:1], 0x1a8
	s_load_dword s2, s[12:13], 0x0
	s_load_dwordx4 s[40:43], s[0:1], 0xe4
	s_load_dwordx2 s[60:61], s[0:1], 0xf4
	s_waitcnt lgkmcnt(0)
	v_sub_co_u32_e64 v0, s[12:13], s4, 1
	s_xor_b64 s[54:55], s[12:13], -1
	s_add_u32 s56, s0, 36
	v_readfirstlane_b32 s11, v0
	s_addc_u32 s57, s1, 0
	s_min_u32 s12, s11, 15
	s_cmp_gt_u32 s4, 1
	s_cselect_b64 s[62:63], -1, 0
	s_add_i32 s12, s12, 1
	s_mov_b32 s11, s41
	s_mov_b32 s4, s9
	s_lshl_b64 s[64:65], s[14:15], 5
	s_and_b32 s9, s12, 3
	s_and_b32 s41, s12, 28
	s_cmp_lg_u32 s9, 0
	s_cselect_b64 s[66:67], -1, 0
	s_lshl_b64 s[68:69], s[38:39], 4
	s_lshl_b64 s[0:1], s[14:15], 4
	s_sub_u32 s72, 0, s0
	s_mov_b32 s59, 0
	s_mov_b32 s33, s42
	s_mul_i32 s58, s2, s3
	s_mov_b64 s[70:71], 0
	s_subb_u32 s73, 0, s1
	s_lshl_b64 s[74:75], s[36:37], 4
	v_cmp_lt_u32_e64 s[0:1], 1, v0
	v_cmp_ne_u32_e64 s[2:3], 2, v0
	s_branch .LBB14_3
.LBB14_2:                               ;   in Loop: Header=BB14_3 Depth=1
	v_mov_b32_e32 v5, v1
	v_mov_b32_e32 v7, v1
	v_lshl_add_u64 v[12:13], v[4:5], 4, s[30:31]
	v_lshl_add_u64 v[16:17], v[6:7], 4, s[52:53]
	v_lshl_add_u64 v[20:21], s[38:39], 4, v[12:13]
	v_lshl_add_u64 v[22:23], v[16:17], 0, s[64:65]
	global_load_dwordx4 v[4:7], v[22:23], off
	global_load_dwordx4 v[8:11], v[20:21], off
	s_nop 0
	global_load_dwordx4 v[12:15], v[12:13], off
	s_nop 0
	global_load_dwordx4 v[16:19], v[16:17], off
	v_lshl_add_u64 v[24:25], v[20:21], 0, s[68:69]
	v_lshl_add_u64 v[20:21], v[22:23], 0, s[72:73]
	global_load_dwordx4 v[20:23], v[20:21], off
	s_nop 0
	global_load_dwordx4 v[24:27], v[24:25], off
	v_lshl_add_u64 v[2:3], v[2:3], 0, s[58:59]
	v_lshl_add_u64 v[28:29], v[0:1], 4, s[28:29]
	v_cmp_le_i64_e32 vcc, s[34:35], v[2:3]
	v_lshl_add_u64 v[30:31], s[36:37], 4, v[28:29]
	s_or_b64 s[70:71], vcc, s[70:71]
	v_lshl_add_u64 v[32:33], v[30:31], 0, s[74:75]
	s_waitcnt vmcnt(4)
	v_mul_f64 v[34:35], v[6:7], v[10:11]
	v_mul_f64 v[36:37], v[4:5], v[10:11]
	s_waitcnt vmcnt(3)
	v_mul_f64 v[38:39], v[6:7], v[14:15]
	v_mul_f64 v[40:41], v[4:5], v[14:15]
	s_waitcnt vmcnt(2)
	v_mul_f64 v[42:43], v[10:11], v[18:19]
	s_waitcnt vmcnt(0)
	v_mul_f64 v[46:47], v[22:23], v[26:27]
	v_mul_f64 v[48:49], v[20:21], v[26:27]
	;; [unrolled: 1-line block ×3, first 2 shown]
	v_fma_f64 v[34:35], v[4:5], v[8:9], -v[34:35]
	v_fmac_f64_e32 v[36:37], v[6:7], v[8:9]
	v_mul_f64 v[50:51], v[26:27], v[18:19]
	v_mul_f64 v[18:19], v[24:25], v[18:19]
	v_fma_f64 v[38:39], v[4:5], v[12:13], -v[38:39]
	v_fmac_f64_e32 v[40:41], v[6:7], v[12:13]
	v_mul_f64 v[4:5], v[22:23], v[14:15]
	v_mul_f64 v[14:15], v[20:21], v[14:15]
	v_fma_f64 v[6:7], v[20:21], v[24:25], -v[46:47]
	v_fmac_f64_e32 v[48:49], v[22:23], v[24:25]
	v_fma_f64 v[42:43], v[8:9], v[16:17], -v[42:43]
	v_fmac_f64_e32 v[44:45], v[10:11], v[16:17]
	;; [unrolled: 2-line block ×4, first 2 shown]
	v_add_f64 v[4:5], v[34:35], -v[6:7]
	v_add_f64 v[6:7], v[36:37], -v[48:49]
	;; [unrolled: 1-line block ×6, first 2 shown]
	global_store_dwordx4 v[28:29], v[4:7], off
	global_store_dwordx4 v[30:31], v[8:11], off
	;; [unrolled: 1-line block ×3, first 2 shown]
	s_andn2_b64 exec, exec, s[70:71]
	s_cbranch_execz .LBB14_17
.LBB14_3:                               ; =>This Loop Header: Depth=1
                                        ;     Child Loop BB14_7 Depth 2
                                        ;     Child Loop BB14_11 Depth 2
	s_andn2_b64 vcc, exec, s[0:1]
	s_mov_b64 s[12:13], -1
                                        ; implicit-def: $vgpr6
                                        ; implicit-def: $vgpr4
	s_cbranch_vccnz .LBB14_14
; %bb.4:                                ;   in Loop: Header=BB14_3 Depth=1
	v_mov_b32_e32 v6, 0
	s_andn2_b64 vcc, exec, s[54:55]
	v_mov_b32_e32 v4, 0
	v_mov_b32_e32 v0, 0
	s_cbranch_vccnz .LBB14_13
; %bb.5:                                ;   in Loop: Header=BB14_3 Depth=1
	s_andn2_b64 vcc, exec, s[2:3]
	s_cbranch_vccnz .LBB14_9
; %bb.6:                                ;   in Loop: Header=BB14_3 Depth=1
	v_mov_b32_e32 v8, 0
	s_mov_b32 s42, 0
	s_mov_b64 s[76:77], s[56:57]
	v_mov_b32_e32 v0, v2
	v_mov_b32_e32 v4, 0
	;; [unrolled: 1-line block ×3, first 2 shown]
.LBB14_7:                               ;   Parent Loop BB14_3 Depth=1
                                        ; =>  This Inner Loop Header: Depth=2
	s_load_dwordx8 s[12:19], s[76:77], 0x0
	s_load_dwordx4 s[44:47], s[76:77], 0x20
	s_load_dwordx4 s[48:51], s[76:77], 0xe0
	s_load_dwordx8 s[20:27], s[76:77], 0xc0
	s_add_i32 s42, s42, 4
	s_waitcnt lgkmcnt(0)
	v_mul_hi_u32 v5, s13, v0
	v_add_u32_e32 v5, v0, v5
	v_lshrrev_b32_e32 v5, s14, v5
	v_mul_lo_u32 v7, v5, s12
	v_mul_hi_u32 v9, s16, v5
	v_sub_u32_e32 v0, v0, v7
	v_add_u32_e32 v7, v5, v9
	v_lshrrev_b32_e32 v7, s17, v7
	v_mul_lo_u32 v11, v7, s15
	v_mul_hi_u32 v12, s19, v7
	v_sub_u32_e32 v5, v5, v11
	v_add_u32_e32 v11, v7, v12
	v_mul_lo_u32 v9, v0, s20
	v_mul_lo_u32 v10, v0, s22
	;; [unrolled: 1-line block ×6, first 2 shown]
	v_lshrrev_b32_e32 v11, s44, v11
	v_add3_u32 v4, v0, v4, v5
	v_add3_u32 v5, v10, v6, v13
	v_mul_lo_u32 v0, v11, s18
	v_mul_hi_u32 v6, s46, v11
	v_sub_u32_e32 v0, v7, v0
	v_add_u32_e32 v6, v11, v6
	v_add3_u32 v8, v9, v8, v12
	v_mul_lo_u32 v7, v0, s26
	v_mul_lo_u32 v9, v0, s27
	v_mul_lo_u32 v10, v0, s48
	v_lshrrev_b32_e32 v0, s47, v6
	v_mul_lo_u32 v6, v0, s45
	s_add_u32 s76, s76, 48
	v_sub_u32_e32 v6, v11, v6
	s_addc_u32 s77, s77, 0
	v_mul_lo_u32 v11, v6, s49
	v_mul_lo_u32 v12, v6, s50
	;; [unrolled: 1-line block ×3, first 2 shown]
	s_cmp_lg_u32 s41, s42
	v_add3_u32 v8, v7, v8, v11
	v_add3_u32 v6, v10, v5, v6
	;; [unrolled: 1-line block ×3, first 2 shown]
	s_cbranch_scc1 .LBB14_7
; %bb.8:                                ;   in Loop: Header=BB14_3 Depth=1
	v_mov_b32_e32 v5, v6
	s_mov_b32 s12, s41
	s_andn2_b64 vcc, exec, s[66:67]
	s_cbranch_vccz .LBB14_10
	s_branch .LBB14_12
.LBB14_9:                               ;   in Loop: Header=BB14_3 Depth=1
	v_mov_b32_e32 v0, v1
	s_mov_b32 s12, 0
	v_mov_b32_e32 v8, 0
                                        ; implicit-def: $vgpr6
	v_mov_b64_e32 v[4:5], v[0:1]
	v_mov_b32_e32 v0, v2
	s_andn2_b64 vcc, exec, s[66:67]
	s_cbranch_vccnz .LBB14_12
.LBB14_10:                              ;   in Loop: Header=BB14_3 Depth=1
	s_mul_i32 s12, s12, 12
	s_add_u32 s12, s56, s12
	s_addc_u32 s13, s57, 0
	s_mov_b32 s14, s9
.LBB14_11:                              ;   Parent Loop BB14_3 Depth=1
                                        ; =>  This Inner Loop Header: Depth=2
	s_load_dwordx2 s[16:17], s[12:13], 0x0
	s_load_dword s15, s[12:13], 0x8
	s_load_dwordx2 s[18:19], s[12:13], 0xc0
	s_load_dword s20, s[12:13], 0xc8
	v_mov_b32_e32 v6, v5
	s_waitcnt lgkmcnt(0)
	v_mul_hi_u32 v5, s17, v0
	v_add_u32_e32 v5, v0, v5
	v_lshrrev_b32_e32 v5, s15, v5
	v_mul_lo_u32 v7, v5, s16
	s_add_u32 s12, s12, 12
	v_sub_u32_e32 v10, v0, v7
	s_addc_u32 s13, s13, 0
	s_add_i32 s14, s14, -1
	v_mov_b32_e32 v0, v5
	v_mad_u64_u32 v[6:7], s[16:17], v10, s20, v[6:7]
	v_mad_u64_u32 v[4:5], s[16:17], v10, s19, v[4:5]
	s_cmp_lg_u32 s14, 0
	v_mad_u64_u32 v[8:9], s[16:17], v10, s18, v[8:9]
	v_mov_b32_e32 v5, v6
	s_cbranch_scc1 .LBB14_11
.LBB14_12:                              ;   in Loop: Header=BB14_3 Depth=1
	v_mov_b32_e32 v0, v8
.LBB14_13:                              ;   in Loop: Header=BB14_3 Depth=1
	s_mov_b64 s[12:13], 0
.LBB14_14:                              ;   in Loop: Header=BB14_3 Depth=1
	s_andn2_b64 vcc, exec, s[12:13]
	s_cbranch_vccnz .LBB14_2
; %bb.15:                               ;   in Loop: Header=BB14_3 Depth=1
	v_mul_lo_u32 v0, v3, s6
	v_mul_hi_u32 v4, v2, s6
	v_add3_u32 v0, v4, v0, v2
	v_lshrrev_b32_e32 v5, s7, v0
	v_mul_lo_u32 v0, v5, s5
	v_sub_u32_e32 v4, v2, v0
	v_mul_lo_u32 v0, v4, s40
	v_mul_lo_u32 v6, v4, s33
	s_andn2_b64 vcc, exec, s[62:63]
	v_mul_lo_u32 v4, v4, s11
	s_cbranch_vccnz .LBB14_2
; %bb.16:                               ;   in Loop: Header=BB14_3 Depth=1
	v_mul_hi_u32 v7, s4, v5
	v_add_u32_e32 v7, v5, v7
	v_lshrrev_b32_e32 v7, s10, v7
	v_mul_lo_u32 v7, v7, s8
	v_sub_u32_e32 v7, v5, v7
	v_mad_u64_u32 v[8:9], s[12:13], v7, s43, v[0:1]
	v_mad_u64_u32 v[4:5], s[12:13], v7, s60, v[4:5]
	;; [unrolled: 1-line block ×3, first 2 shown]
	v_mov_b32_e32 v0, v8
	s_branch .LBB14_2
.LBB14_17:
	s_endpgm
	.section	.rodata,"a",@progbits
	.p2align	6, 0x0
	.amdhsa_kernel _ZN2at6native12cross_kernelIN3c107complexIdEE16OffsetCalculatorILi3EjLb0EElEEviPT_PKS7_SA_T0_T1_SC_SC_
		.amdhsa_group_segment_fixed_size 0
		.amdhsa_private_segment_fixed_size 0
		.amdhsa_kernarg_size 704
		.amdhsa_user_sgpr_count 2
		.amdhsa_user_sgpr_dispatch_ptr 0
		.amdhsa_user_sgpr_queue_ptr 0
		.amdhsa_user_sgpr_kernarg_segment_ptr 1
		.amdhsa_user_sgpr_dispatch_id 0
		.amdhsa_user_sgpr_kernarg_preload_length 0
		.amdhsa_user_sgpr_kernarg_preload_offset 0
		.amdhsa_user_sgpr_private_segment_size 0
		.amdhsa_uses_dynamic_stack 0
		.amdhsa_enable_private_segment 0
		.amdhsa_system_sgpr_workgroup_id_x 1
		.amdhsa_system_sgpr_workgroup_id_y 0
		.amdhsa_system_sgpr_workgroup_id_z 0
		.amdhsa_system_sgpr_workgroup_info 0
		.amdhsa_system_vgpr_workitem_id 0
		.amdhsa_next_free_vgpr 52
		.amdhsa_next_free_sgpr 78
		.amdhsa_accum_offset 52
		.amdhsa_reserve_vcc 1
		.amdhsa_float_round_mode_32 0
		.amdhsa_float_round_mode_16_64 0
		.amdhsa_float_denorm_mode_32 3
		.amdhsa_float_denorm_mode_16_64 3
		.amdhsa_dx10_clamp 1
		.amdhsa_ieee_mode 1
		.amdhsa_fp16_overflow 0
		.amdhsa_tg_split 0
		.amdhsa_exception_fp_ieee_invalid_op 0
		.amdhsa_exception_fp_denorm_src 0
		.amdhsa_exception_fp_ieee_div_zero 0
		.amdhsa_exception_fp_ieee_overflow 0
		.amdhsa_exception_fp_ieee_underflow 0
		.amdhsa_exception_fp_ieee_inexact 0
		.amdhsa_exception_int_div_zero 0
	.end_amdhsa_kernel
	.section	.text._ZN2at6native12cross_kernelIN3c107complexIdEE16OffsetCalculatorILi3EjLb0EElEEviPT_PKS7_SA_T0_T1_SC_SC_,"axG",@progbits,_ZN2at6native12cross_kernelIN3c107complexIdEE16OffsetCalculatorILi3EjLb0EElEEviPT_PKS7_SA_T0_T1_SC_SC_,comdat
.Lfunc_end14:
	.size	_ZN2at6native12cross_kernelIN3c107complexIdEE16OffsetCalculatorILi3EjLb0EElEEviPT_PKS7_SA_T0_T1_SC_SC_, .Lfunc_end14-_ZN2at6native12cross_kernelIN3c107complexIdEE16OffsetCalculatorILi3EjLb0EElEEviPT_PKS7_SA_T0_T1_SC_SC_
                                        ; -- End function
	.set _ZN2at6native12cross_kernelIN3c107complexIdEE16OffsetCalculatorILi3EjLb0EElEEviPT_PKS7_SA_T0_T1_SC_SC_.num_vgpr, 52
	.set _ZN2at6native12cross_kernelIN3c107complexIdEE16OffsetCalculatorILi3EjLb0EElEEviPT_PKS7_SA_T0_T1_SC_SC_.num_agpr, 0
	.set _ZN2at6native12cross_kernelIN3c107complexIdEE16OffsetCalculatorILi3EjLb0EElEEviPT_PKS7_SA_T0_T1_SC_SC_.numbered_sgpr, 78
	.set _ZN2at6native12cross_kernelIN3c107complexIdEE16OffsetCalculatorILi3EjLb0EElEEviPT_PKS7_SA_T0_T1_SC_SC_.num_named_barrier, 0
	.set _ZN2at6native12cross_kernelIN3c107complexIdEE16OffsetCalculatorILi3EjLb0EElEEviPT_PKS7_SA_T0_T1_SC_SC_.private_seg_size, 0
	.set _ZN2at6native12cross_kernelIN3c107complexIdEE16OffsetCalculatorILi3EjLb0EElEEviPT_PKS7_SA_T0_T1_SC_SC_.uses_vcc, 1
	.set _ZN2at6native12cross_kernelIN3c107complexIdEE16OffsetCalculatorILi3EjLb0EElEEviPT_PKS7_SA_T0_T1_SC_SC_.uses_flat_scratch, 0
	.set _ZN2at6native12cross_kernelIN3c107complexIdEE16OffsetCalculatorILi3EjLb0EElEEviPT_PKS7_SA_T0_T1_SC_SC_.has_dyn_sized_stack, 0
	.set _ZN2at6native12cross_kernelIN3c107complexIdEE16OffsetCalculatorILi3EjLb0EElEEviPT_PKS7_SA_T0_T1_SC_SC_.has_recursion, 0
	.set _ZN2at6native12cross_kernelIN3c107complexIdEE16OffsetCalculatorILi3EjLb0EElEEviPT_PKS7_SA_T0_T1_SC_SC_.has_indirect_call, 0
	.section	.AMDGPU.csdata,"",@progbits
; Kernel info:
; codeLenInByte = 1396
; TotalNumSgprs: 84
; NumVgprs: 52
; NumAgprs: 0
; TotalNumVgprs: 52
; ScratchSize: 0
; MemoryBound: 0
; FloatMode: 240
; IeeeMode: 1
; LDSByteSize: 0 bytes/workgroup (compile time only)
; SGPRBlocks: 10
; VGPRBlocks: 6
; NumSGPRsForWavesPerEU: 84
; NumVGPRsForWavesPerEU: 52
; AccumOffset: 52
; Occupancy: 8
; WaveLimiterHint : 1
; COMPUTE_PGM_RSRC2:SCRATCH_EN: 0
; COMPUTE_PGM_RSRC2:USER_SGPR: 2
; COMPUTE_PGM_RSRC2:TRAP_HANDLER: 0
; COMPUTE_PGM_RSRC2:TGID_X_EN: 1
; COMPUTE_PGM_RSRC2:TGID_Y_EN: 0
; COMPUTE_PGM_RSRC2:TGID_Z_EN: 0
; COMPUTE_PGM_RSRC2:TIDIG_COMP_CNT: 0
; COMPUTE_PGM_RSRC3_GFX90A:ACCUM_OFFSET: 12
; COMPUTE_PGM_RSRC3_GFX90A:TG_SPLIT: 0
	.section	.text._ZN2at6native12cross_kernelIN3c107complexIdEE16OffsetCalculatorILi3EjLb0EEiEEviPT_PKS7_SA_T0_T1_SC_SC_,"axG",@progbits,_ZN2at6native12cross_kernelIN3c107complexIdEE16OffsetCalculatorILi3EjLb0EEiEEviPT_PKS7_SA_T0_T1_SC_SC_,comdat
	.protected	_ZN2at6native12cross_kernelIN3c107complexIdEE16OffsetCalculatorILi3EjLb0EEiEEviPT_PKS7_SA_T0_T1_SC_SC_ ; -- Begin function _ZN2at6native12cross_kernelIN3c107complexIdEE16OffsetCalculatorILi3EjLb0EEiEEviPT_PKS7_SA_T0_T1_SC_SC_
	.globl	_ZN2at6native12cross_kernelIN3c107complexIdEE16OffsetCalculatorILi3EjLb0EEiEEviPT_PKS7_SA_T0_T1_SC_SC_
	.p2align	8
	.type	_ZN2at6native12cross_kernelIN3c107complexIdEE16OffsetCalculatorILi3EjLb0EEiEEviPT_PKS7_SA_T0_T1_SC_SC_,@function
_ZN2at6native12cross_kernelIN3c107complexIdEE16OffsetCalculatorILi3EjLb0EEiEEviPT_PKS7_SA_T0_T1_SC_SC_: ; @_ZN2at6native12cross_kernelIN3c107complexIdEE16OffsetCalculatorILi3EjLb0EEiEEviPT_PKS7_SA_T0_T1_SC_SC_
; %bb.0:
	s_load_dword s34, s[0:1], 0x0
	s_load_dword s3, s[0:1], 0x1bc
	v_mov_b32_e32 v1, 0
	v_mov_b32_e32 v2, s2
	s_waitcnt lgkmcnt(0)
	s_ashr_i32 s35, s34, 31
	s_add_u32 s12, s0, 0x1b0
	s_addc_u32 s13, s1, 0
	s_and_b32 s3, s3, 0xffff
	v_mad_u64_u32 v[2:3], s[4:5], s3, v2, v[0:1]
	v_cmp_gt_i64_e32 vcc, s[34:35], v[2:3]
	s_and_saveexec_b64 s[4:5], vcc
	s_cbranch_execz .LBB15_17
; %bb.1:
	s_load_dwordx8 s[4:11], s[0:1], 0x20
	s_load_dwordx4 s[28:31], s[0:1], 0x8
	s_load_dwordx2 s[52:53], s[0:1], 0x18
	s_load_dwordx4 s[36:39], s[0:1], 0x1a4
	s_load_dword s2, s[12:13], 0x0
	s_waitcnt lgkmcnt(0)
	v_sub_co_u32_e64 v0, s[12:13], s4, 1
	s_xor_b64 s[54:55], s[12:13], -1
	s_load_dwordx4 s[40:43], s[0:1], 0xe4
	s_load_dwordx2 s[60:61], s[0:1], 0xf4
	s_add_u32 s56, s0, 36
	v_readfirstlane_b32 s11, v0
	s_addc_u32 s57, s1, 0
	s_min_u32 s12, s11, 15
	s_cmp_gt_u32 s4, 1
	s_cselect_b64 s[62:63], -1, 0
	s_lshl_b32 s66, s38, 1
	s_add_i32 s12, s12, 1
	s_waitcnt lgkmcnt(0)
	s_mov_b32 s11, s41
	s_mov_b32 s4, s9
	s_ashr_i32 s65, s37, 31
	s_mov_b32 s64, s37
	s_ashr_i32 s67, s66, 31
	s_ashr_i32 s37, s36, 31
	s_and_b32 s9, s12, 3
	s_and_b32 s41, s12, 28
	s_cmp_lg_u32 s9, 0
	s_cselect_b64 s[68:69], -1, 0
	s_ashr_i32 s39, s38, 31
	s_lshl_b64 s[70:71], s[64:65], 4
	s_lshl_b64 s[0:1], s[38:39], 4
	s_sub_u32 s72, 0, s0
	s_mov_b32 s59, 0
	s_mov_b32 s33, s42
	s_mul_i32 s58, s2, s3
	s_mov_b64 s[38:39], 0
	s_subb_u32 s73, 0, s1
	s_lshl_b64 s[74:75], s[36:37], 4
	v_cmp_lt_u32_e64 s[0:1], 1, v0
	v_cmp_ne_u32_e64 s[2:3], 2, v0
	s_branch .LBB15_3
.LBB15_2:                               ;   in Loop: Header=BB15_3 Depth=1
	v_mov_b32_e32 v5, v1
	v_mov_b32_e32 v7, v1
	v_lshl_add_u64 v[12:13], v[4:5], 4, s[30:31]
	v_lshl_add_u64 v[16:17], v[6:7], 4, s[52:53]
	;; [unrolled: 1-line block ×4, first 2 shown]
	global_load_dwordx4 v[4:7], v[22:23], off
	global_load_dwordx4 v[8:11], v[20:21], off
	s_nop 0
	global_load_dwordx4 v[12:15], v[12:13], off
	s_nop 0
	global_load_dwordx4 v[16:19], v[16:17], off
	v_lshl_add_u64 v[24:25], v[20:21], 0, s[70:71]
	v_lshl_add_u64 v[20:21], v[22:23], 0, s[72:73]
	global_load_dwordx4 v[20:23], v[20:21], off
	s_nop 0
	global_load_dwordx4 v[24:27], v[24:25], off
	v_lshl_add_u64 v[2:3], v[2:3], 0, s[58:59]
	v_lshl_add_u64 v[28:29], v[0:1], 4, s[28:29]
	v_cmp_le_i64_e32 vcc, s[34:35], v[2:3]
	v_lshl_add_u64 v[30:31], s[36:37], 4, v[28:29]
	s_or_b64 s[38:39], vcc, s[38:39]
	v_lshl_add_u64 v[32:33], v[30:31], 0, s[74:75]
	s_waitcnt vmcnt(4)
	v_mul_f64 v[34:35], v[6:7], v[10:11]
	v_mul_f64 v[36:37], v[4:5], v[10:11]
	s_waitcnt vmcnt(3)
	v_mul_f64 v[38:39], v[6:7], v[14:15]
	v_mul_f64 v[40:41], v[4:5], v[14:15]
	s_waitcnt vmcnt(2)
	v_mul_f64 v[42:43], v[10:11], v[18:19]
	s_waitcnt vmcnt(0)
	v_mul_f64 v[46:47], v[22:23], v[26:27]
	v_mul_f64 v[48:49], v[20:21], v[26:27]
	;; [unrolled: 1-line block ×3, first 2 shown]
	v_fma_f64 v[34:35], v[4:5], v[8:9], -v[34:35]
	v_fmac_f64_e32 v[36:37], v[6:7], v[8:9]
	v_mul_f64 v[50:51], v[26:27], v[18:19]
	v_mul_f64 v[18:19], v[24:25], v[18:19]
	v_fma_f64 v[38:39], v[4:5], v[12:13], -v[38:39]
	v_fmac_f64_e32 v[40:41], v[6:7], v[12:13]
	v_mul_f64 v[4:5], v[22:23], v[14:15]
	v_mul_f64 v[14:15], v[20:21], v[14:15]
	v_fma_f64 v[6:7], v[20:21], v[24:25], -v[46:47]
	v_fmac_f64_e32 v[48:49], v[22:23], v[24:25]
	v_fma_f64 v[42:43], v[8:9], v[16:17], -v[42:43]
	v_fmac_f64_e32 v[44:45], v[10:11], v[16:17]
	v_fma_f64 v[8:9], v[24:25], v[16:17], -v[50:51]
	v_fmac_f64_e32 v[18:19], v[26:27], v[16:17]
	v_fma_f64 v[16:17], v[20:21], v[12:13], -v[4:5]
	v_fmac_f64_e32 v[14:15], v[22:23], v[12:13]
	v_add_f64 v[4:5], v[34:35], -v[6:7]
	v_add_f64 v[6:7], v[36:37], -v[48:49]
	;; [unrolled: 1-line block ×6, first 2 shown]
	global_store_dwordx4 v[28:29], v[4:7], off
	global_store_dwordx4 v[30:31], v[8:11], off
	;; [unrolled: 1-line block ×3, first 2 shown]
	s_andn2_b64 exec, exec, s[38:39]
	s_cbranch_execz .LBB15_17
.LBB15_3:                               ; =>This Loop Header: Depth=1
                                        ;     Child Loop BB15_7 Depth 2
                                        ;     Child Loop BB15_11 Depth 2
	s_andn2_b64 vcc, exec, s[0:1]
	s_mov_b64 s[12:13], -1
                                        ; implicit-def: $vgpr6
                                        ; implicit-def: $vgpr4
	s_cbranch_vccnz .LBB15_14
; %bb.4:                                ;   in Loop: Header=BB15_3 Depth=1
	v_mov_b32_e32 v6, 0
	s_andn2_b64 vcc, exec, s[54:55]
	v_mov_b32_e32 v4, 0
	v_mov_b32_e32 v0, 0
	s_cbranch_vccnz .LBB15_13
; %bb.5:                                ;   in Loop: Header=BB15_3 Depth=1
	s_andn2_b64 vcc, exec, s[2:3]
	s_cbranch_vccnz .LBB15_9
; %bb.6:                                ;   in Loop: Header=BB15_3 Depth=1
	v_mov_b32_e32 v8, 0
	s_mov_b32 s42, 0
	s_mov_b64 s[76:77], s[56:57]
	v_mov_b32_e32 v0, v2
	v_mov_b32_e32 v4, 0
	;; [unrolled: 1-line block ×3, first 2 shown]
.LBB15_7:                               ;   Parent Loop BB15_3 Depth=1
                                        ; =>  This Inner Loop Header: Depth=2
	s_load_dwordx8 s[12:19], s[76:77], 0x0
	s_load_dwordx4 s[44:47], s[76:77], 0x20
	s_load_dwordx4 s[48:51], s[76:77], 0xe0
	s_load_dwordx8 s[20:27], s[76:77], 0xc0
	s_add_i32 s42, s42, 4
	s_waitcnt lgkmcnt(0)
	v_mul_hi_u32 v5, s13, v0
	v_add_u32_e32 v5, v0, v5
	v_lshrrev_b32_e32 v5, s14, v5
	v_mul_lo_u32 v7, v5, s12
	v_mul_hi_u32 v9, s16, v5
	v_sub_u32_e32 v0, v0, v7
	v_add_u32_e32 v7, v5, v9
	v_lshrrev_b32_e32 v7, s17, v7
	v_mul_lo_u32 v11, v7, s15
	v_mul_hi_u32 v12, s19, v7
	v_sub_u32_e32 v5, v5, v11
	v_add_u32_e32 v11, v7, v12
	v_mul_lo_u32 v9, v0, s20
	v_mul_lo_u32 v10, v0, s22
	;; [unrolled: 1-line block ×6, first 2 shown]
	v_lshrrev_b32_e32 v11, s44, v11
	v_add3_u32 v4, v0, v4, v5
	v_add3_u32 v5, v10, v6, v13
	v_mul_lo_u32 v0, v11, s18
	v_mul_hi_u32 v6, s46, v11
	v_sub_u32_e32 v0, v7, v0
	v_add_u32_e32 v6, v11, v6
	v_add3_u32 v8, v9, v8, v12
	v_mul_lo_u32 v7, v0, s26
	v_mul_lo_u32 v9, v0, s27
	;; [unrolled: 1-line block ×3, first 2 shown]
	v_lshrrev_b32_e32 v0, s47, v6
	v_mul_lo_u32 v6, v0, s45
	s_add_u32 s76, s76, 48
	v_sub_u32_e32 v6, v11, v6
	s_addc_u32 s77, s77, 0
	v_mul_lo_u32 v11, v6, s49
	v_mul_lo_u32 v12, v6, s50
	;; [unrolled: 1-line block ×3, first 2 shown]
	s_cmp_lg_u32 s41, s42
	v_add3_u32 v8, v7, v8, v11
	v_add3_u32 v6, v10, v5, v6
	;; [unrolled: 1-line block ×3, first 2 shown]
	s_cbranch_scc1 .LBB15_7
; %bb.8:                                ;   in Loop: Header=BB15_3 Depth=1
	v_mov_b32_e32 v5, v6
	s_mov_b32 s12, s41
	s_andn2_b64 vcc, exec, s[68:69]
	s_cbranch_vccz .LBB15_10
	s_branch .LBB15_12
.LBB15_9:                               ;   in Loop: Header=BB15_3 Depth=1
	v_mov_b32_e32 v0, v1
	s_mov_b32 s12, 0
	v_mov_b32_e32 v8, 0
                                        ; implicit-def: $vgpr6
	v_mov_b64_e32 v[4:5], v[0:1]
	v_mov_b32_e32 v0, v2
	s_andn2_b64 vcc, exec, s[68:69]
	s_cbranch_vccnz .LBB15_12
.LBB15_10:                              ;   in Loop: Header=BB15_3 Depth=1
	s_mul_i32 s12, s12, 12
	s_add_u32 s12, s56, s12
	s_addc_u32 s13, s57, 0
	s_mov_b32 s14, s9
.LBB15_11:                              ;   Parent Loop BB15_3 Depth=1
                                        ; =>  This Inner Loop Header: Depth=2
	s_load_dwordx2 s[16:17], s[12:13], 0x0
	s_load_dword s15, s[12:13], 0x8
	s_load_dwordx2 s[18:19], s[12:13], 0xc0
	s_load_dword s20, s[12:13], 0xc8
	v_mov_b32_e32 v6, v5
	s_waitcnt lgkmcnt(0)
	v_mul_hi_u32 v5, s17, v0
	v_add_u32_e32 v5, v0, v5
	v_lshrrev_b32_e32 v5, s15, v5
	v_mul_lo_u32 v7, v5, s16
	s_add_u32 s12, s12, 12
	v_sub_u32_e32 v10, v0, v7
	s_addc_u32 s13, s13, 0
	s_add_i32 s14, s14, -1
	v_mov_b32_e32 v0, v5
	v_mad_u64_u32 v[6:7], s[16:17], v10, s20, v[6:7]
	v_mad_u64_u32 v[4:5], s[16:17], v10, s19, v[4:5]
	s_cmp_lg_u32 s14, 0
	v_mad_u64_u32 v[8:9], s[16:17], v10, s18, v[8:9]
	v_mov_b32_e32 v5, v6
	s_cbranch_scc1 .LBB15_11
.LBB15_12:                              ;   in Loop: Header=BB15_3 Depth=1
	v_mov_b32_e32 v0, v8
.LBB15_13:                              ;   in Loop: Header=BB15_3 Depth=1
	s_mov_b64 s[12:13], 0
.LBB15_14:                              ;   in Loop: Header=BB15_3 Depth=1
	s_andn2_b64 vcc, exec, s[12:13]
	s_cbranch_vccnz .LBB15_2
; %bb.15:                               ;   in Loop: Header=BB15_3 Depth=1
	v_mul_lo_u32 v0, v3, s6
	v_mul_hi_u32 v4, v2, s6
	v_add3_u32 v0, v4, v0, v2
	v_lshrrev_b32_e32 v5, s7, v0
	v_mul_lo_u32 v0, v5, s5
	v_sub_u32_e32 v4, v2, v0
	v_mul_lo_u32 v0, v4, s40
	v_mul_lo_u32 v6, v4, s33
	s_andn2_b64 vcc, exec, s[62:63]
	v_mul_lo_u32 v4, v4, s11
	s_cbranch_vccnz .LBB15_2
; %bb.16:                               ;   in Loop: Header=BB15_3 Depth=1
	v_mul_hi_u32 v7, s4, v5
	v_add_u32_e32 v7, v5, v7
	v_lshrrev_b32_e32 v7, s10, v7
	v_mul_lo_u32 v7, v7, s8
	v_sub_u32_e32 v7, v5, v7
	v_mad_u64_u32 v[8:9], s[12:13], v7, s43, v[0:1]
	v_mad_u64_u32 v[4:5], s[12:13], v7, s60, v[4:5]
	;; [unrolled: 1-line block ×3, first 2 shown]
	v_mov_b32_e32 v0, v8
	s_branch .LBB15_2
.LBB15_17:
	s_endpgm
	.section	.rodata,"a",@progbits
	.p2align	6, 0x0
	.amdhsa_kernel _ZN2at6native12cross_kernelIN3c107complexIdEE16OffsetCalculatorILi3EjLb0EEiEEviPT_PKS7_SA_T0_T1_SC_SC_
		.amdhsa_group_segment_fixed_size 0
		.amdhsa_private_segment_fixed_size 0
		.amdhsa_kernarg_size 688
		.amdhsa_user_sgpr_count 2
		.amdhsa_user_sgpr_dispatch_ptr 0
		.amdhsa_user_sgpr_queue_ptr 0
		.amdhsa_user_sgpr_kernarg_segment_ptr 1
		.amdhsa_user_sgpr_dispatch_id 0
		.amdhsa_user_sgpr_kernarg_preload_length 0
		.amdhsa_user_sgpr_kernarg_preload_offset 0
		.amdhsa_user_sgpr_private_segment_size 0
		.amdhsa_uses_dynamic_stack 0
		.amdhsa_enable_private_segment 0
		.amdhsa_system_sgpr_workgroup_id_x 1
		.amdhsa_system_sgpr_workgroup_id_y 0
		.amdhsa_system_sgpr_workgroup_id_z 0
		.amdhsa_system_sgpr_workgroup_info 0
		.amdhsa_system_vgpr_workitem_id 0
		.amdhsa_next_free_vgpr 52
		.amdhsa_next_free_sgpr 78
		.amdhsa_accum_offset 52
		.amdhsa_reserve_vcc 1
		.amdhsa_float_round_mode_32 0
		.amdhsa_float_round_mode_16_64 0
		.amdhsa_float_denorm_mode_32 3
		.amdhsa_float_denorm_mode_16_64 3
		.amdhsa_dx10_clamp 1
		.amdhsa_ieee_mode 1
		.amdhsa_fp16_overflow 0
		.amdhsa_tg_split 0
		.amdhsa_exception_fp_ieee_invalid_op 0
		.amdhsa_exception_fp_denorm_src 0
		.amdhsa_exception_fp_ieee_div_zero 0
		.amdhsa_exception_fp_ieee_overflow 0
		.amdhsa_exception_fp_ieee_underflow 0
		.amdhsa_exception_fp_ieee_inexact 0
		.amdhsa_exception_int_div_zero 0
	.end_amdhsa_kernel
	.section	.text._ZN2at6native12cross_kernelIN3c107complexIdEE16OffsetCalculatorILi3EjLb0EEiEEviPT_PKS7_SA_T0_T1_SC_SC_,"axG",@progbits,_ZN2at6native12cross_kernelIN3c107complexIdEE16OffsetCalculatorILi3EjLb0EEiEEviPT_PKS7_SA_T0_T1_SC_SC_,comdat
.Lfunc_end15:
	.size	_ZN2at6native12cross_kernelIN3c107complexIdEE16OffsetCalculatorILi3EjLb0EEiEEviPT_PKS7_SA_T0_T1_SC_SC_, .Lfunc_end15-_ZN2at6native12cross_kernelIN3c107complexIdEE16OffsetCalculatorILi3EjLb0EEiEEviPT_PKS7_SA_T0_T1_SC_SC_
                                        ; -- End function
	.set _ZN2at6native12cross_kernelIN3c107complexIdEE16OffsetCalculatorILi3EjLb0EEiEEviPT_PKS7_SA_T0_T1_SC_SC_.num_vgpr, 52
	.set _ZN2at6native12cross_kernelIN3c107complexIdEE16OffsetCalculatorILi3EjLb0EEiEEviPT_PKS7_SA_T0_T1_SC_SC_.num_agpr, 0
	.set _ZN2at6native12cross_kernelIN3c107complexIdEE16OffsetCalculatorILi3EjLb0EEiEEviPT_PKS7_SA_T0_T1_SC_SC_.numbered_sgpr, 78
	.set _ZN2at6native12cross_kernelIN3c107complexIdEE16OffsetCalculatorILi3EjLb0EEiEEviPT_PKS7_SA_T0_T1_SC_SC_.num_named_barrier, 0
	.set _ZN2at6native12cross_kernelIN3c107complexIdEE16OffsetCalculatorILi3EjLb0EEiEEviPT_PKS7_SA_T0_T1_SC_SC_.private_seg_size, 0
	.set _ZN2at6native12cross_kernelIN3c107complexIdEE16OffsetCalculatorILi3EjLb0EEiEEviPT_PKS7_SA_T0_T1_SC_SC_.uses_vcc, 1
	.set _ZN2at6native12cross_kernelIN3c107complexIdEE16OffsetCalculatorILi3EjLb0EEiEEviPT_PKS7_SA_T0_T1_SC_SC_.uses_flat_scratch, 0
	.set _ZN2at6native12cross_kernelIN3c107complexIdEE16OffsetCalculatorILi3EjLb0EEiEEviPT_PKS7_SA_T0_T1_SC_SC_.has_dyn_sized_stack, 0
	.set _ZN2at6native12cross_kernelIN3c107complexIdEE16OffsetCalculatorILi3EjLb0EEiEEviPT_PKS7_SA_T0_T1_SC_SC_.has_recursion, 0
	.set _ZN2at6native12cross_kernelIN3c107complexIdEE16OffsetCalculatorILi3EjLb0EEiEEviPT_PKS7_SA_T0_T1_SC_SC_.has_indirect_call, 0
	.section	.AMDGPU.csdata,"",@progbits
; Kernel info:
; codeLenInByte = 1412
; TotalNumSgprs: 84
; NumVgprs: 52
; NumAgprs: 0
; TotalNumVgprs: 52
; ScratchSize: 0
; MemoryBound: 0
; FloatMode: 240
; IeeeMode: 1
; LDSByteSize: 0 bytes/workgroup (compile time only)
; SGPRBlocks: 10
; VGPRBlocks: 6
; NumSGPRsForWavesPerEU: 84
; NumVGPRsForWavesPerEU: 52
; AccumOffset: 52
; Occupancy: 8
; WaveLimiterHint : 1
; COMPUTE_PGM_RSRC2:SCRATCH_EN: 0
; COMPUTE_PGM_RSRC2:USER_SGPR: 2
; COMPUTE_PGM_RSRC2:TRAP_HANDLER: 0
; COMPUTE_PGM_RSRC2:TGID_X_EN: 1
; COMPUTE_PGM_RSRC2:TGID_Y_EN: 0
; COMPUTE_PGM_RSRC2:TGID_Z_EN: 0
; COMPUTE_PGM_RSRC2:TIDIG_COMP_CNT: 0
; COMPUTE_PGM_RSRC3_GFX90A:ACCUM_OFFSET: 12
; COMPUTE_PGM_RSRC3_GFX90A:TG_SPLIT: 0
	.section	.text._ZN2at6native12cross_kernelIN3c107complexIfEE16OffsetCalculatorILi3EjLb0EElEEviPT_PKS7_SA_T0_T1_SC_SC_,"axG",@progbits,_ZN2at6native12cross_kernelIN3c107complexIfEE16OffsetCalculatorILi3EjLb0EElEEviPT_PKS7_SA_T0_T1_SC_SC_,comdat
	.protected	_ZN2at6native12cross_kernelIN3c107complexIfEE16OffsetCalculatorILi3EjLb0EElEEviPT_PKS7_SA_T0_T1_SC_SC_ ; -- Begin function _ZN2at6native12cross_kernelIN3c107complexIfEE16OffsetCalculatorILi3EjLb0EElEEviPT_PKS7_SA_T0_T1_SC_SC_
	.globl	_ZN2at6native12cross_kernelIN3c107complexIfEE16OffsetCalculatorILi3EjLb0EElEEviPT_PKS7_SA_T0_T1_SC_SC_
	.p2align	8
	.type	_ZN2at6native12cross_kernelIN3c107complexIfEE16OffsetCalculatorILi3EjLb0EElEEviPT_PKS7_SA_T0_T1_SC_SC_,@function
_ZN2at6native12cross_kernelIN3c107complexIfEE16OffsetCalculatorILi3EjLb0EElEEviPT_PKS7_SA_T0_T1_SC_SC_: ; @_ZN2at6native12cross_kernelIN3c107complexIfEE16OffsetCalculatorILi3EjLb0EElEEviPT_PKS7_SA_T0_T1_SC_SC_
; %bb.0:
	s_load_dword s34, s[0:1], 0x0
	s_load_dword s3, s[0:1], 0x1cc
	v_mov_b32_e32 v1, 0
	v_mov_b32_e32 v2, s2
	s_waitcnt lgkmcnt(0)
	s_ashr_i32 s35, s34, 31
	s_add_u32 s12, s0, 0x1c0
	s_addc_u32 s13, s1, 0
	s_and_b32 s3, s3, 0xffff
	v_mad_u64_u32 v[2:3], s[4:5], s3, v2, v[0:1]
	v_cmp_gt_i64_e32 vcc, s[34:35], v[2:3]
	s_and_saveexec_b64 s[4:5], vcc
	s_cbranch_execz .LBB16_17
; %bb.1:
	s_load_dwordx4 s[28:31], s[0:1], 0x8
	s_load_dwordx2 s[52:53], s[0:1], 0x18
	s_load_dwordx8 s[4:11], s[0:1], 0x20
	s_load_dwordx2 s[14:15], s[0:1], 0x1b8
	s_load_dwordx4 s[36:39], s[0:1], 0x1a8
	s_load_dword s2, s[12:13], 0x0
	s_load_dwordx4 s[40:43], s[0:1], 0xe4
	s_load_dwordx2 s[60:61], s[0:1], 0xf4
	s_waitcnt lgkmcnt(0)
	v_sub_co_u32_e64 v0, s[12:13], s4, 1
	s_xor_b64 s[54:55], s[12:13], -1
	s_add_u32 s56, s0, 36
	v_readfirstlane_b32 s11, v0
	s_addc_u32 s57, s1, 0
	s_min_u32 s12, s11, 15
	s_cmp_gt_u32 s4, 1
	s_cselect_b64 s[62:63], -1, 0
	s_add_i32 s12, s12, 1
	s_mov_b32 s11, s41
	s_mov_b32 s4, s9
	s_lshl_b64 s[64:65], s[14:15], 4
	s_and_b32 s9, s12, 3
	s_and_b32 s41, s12, 28
	s_cmp_lg_u32 s9, 0
	s_cselect_b64 s[66:67], -1, 0
	s_lshl_b64 s[68:69], s[38:39], 3
	s_lshl_b64 s[0:1], s[14:15], 3
	s_sub_u32 s72, 0, s0
	s_mov_b32 s59, 0
	s_mov_b32 s33, s42
	s_mul_i32 s58, s2, s3
	s_mov_b64 s[70:71], 0
	s_subb_u32 s73, 0, s1
	s_lshl_b64 s[74:75], s[36:37], 3
	v_cmp_lt_u32_e64 s[0:1], 1, v0
	v_cmp_ne_u32_e64 s[2:3], 2, v0
	s_branch .LBB16_3
.LBB16_2:                               ;   in Loop: Header=BB16_3 Depth=1
	v_mov_b32_e32 v5, v1
	v_mov_b32_e32 v7, v1
	v_lshl_add_u64 v[4:5], v[4:5], 3, s[30:31]
	v_lshl_add_u64 v[6:7], v[6:7], 3, s[52:53]
	;; [unrolled: 1-line block ×4, first 2 shown]
	global_load_dwordx2 v[12:13], v[8:9], off
	s_nop 0
	global_load_dwordx2 v[4:5], v[4:5], off
	s_nop 0
	global_load_dwordx2 v[6:7], v[6:7], off
	s_nop 0
	global_load_dwordx2 v[14:15], v[10:11], off
	v_lshl_add_u64 v[10:11], v[10:11], 0, s[72:73]
	v_lshl_add_u64 v[8:9], v[8:9], 0, s[68:69]
	global_load_dwordx2 v[10:11], v[10:11], off
	v_lshl_add_u64 v[2:3], v[2:3], 0, s[58:59]
	global_load_dwordx2 v[8:9], v[8:9], off
	v_lshl_add_u64 v[16:17], v[0:1], 3, s[28:29]
	v_cmp_le_i64_e32 vcc, s[34:35], v[2:3]
	v_lshl_add_u64 v[18:19], s[36:37], 3, v[16:17]
	s_or_b64 s[70:71], vcc, s[70:71]
	v_lshl_add_u64 v[20:21], v[18:19], 0, s[74:75]
	s_waitcnt vmcnt(3)
	v_pk_mul_f32 v[22:23], v[6:7], v[12:13] op_sel:[0,1]
	s_waitcnt vmcnt(2)
	v_pk_mul_f32 v[24:25], v[14:15], v[4:5] op_sel:[0,1]
	v_pk_mul_f32 v[26:27], v[14:15], v[12:13] op_sel:[0,1]
	v_pk_fma_f32 v[30:31], v[6:7], v[12:13], v[22:23] op_sel:[0,0,1] op_sel_hi:[1,1,0] neg_lo:[0,0,1] neg_hi:[0,0,1]
	v_pk_fma_f32 v[22:23], v[6:7], v[12:13], v[22:23] op_sel:[0,0,1] op_sel_hi:[1,0,0]
	v_pk_fma_f32 v[32:33], v[14:15], v[4:5], v[24:25] op_sel:[0,0,1] op_sel_hi:[1,1,0] neg_lo:[0,0,1] neg_hi:[0,0,1]
	v_pk_fma_f32 v[24:25], v[14:15], v[4:5], v[24:25] op_sel:[0,0,1] op_sel_hi:[1,0,0]
	s_waitcnt vmcnt(0)
	v_pk_mul_f32 v[34:35], v[6:7], v[8:9] op_sel:[0,1]
	v_pk_mul_f32 v[36:37], v[10:11], v[8:9] op_sel:[0,1]
	;; [unrolled: 1-line block ×3, first 2 shown]
	v_pk_fma_f32 v[38:39], v[14:15], v[12:13], v[26:27] op_sel:[0,0,1] op_sel_hi:[1,1,0] neg_lo:[0,0,1] neg_hi:[0,0,1]
	v_pk_fma_f32 v[12:13], v[14:15], v[12:13], v[26:27] op_sel:[0,0,1] op_sel_hi:[1,0,0]
	v_mov_b32_e32 v31, v23
	v_mov_b32_e32 v33, v25
	v_pk_fma_f32 v[22:23], v[6:7], v[8:9], v[34:35] op_sel:[0,0,1] op_sel_hi:[1,1,0] neg_lo:[0,0,1] neg_hi:[0,0,1]
	v_pk_fma_f32 v[6:7], v[6:7], v[8:9], v[34:35] op_sel:[0,0,1] op_sel_hi:[1,0,0]
	v_pk_fma_f32 v[24:25], v[10:11], v[8:9], v[36:37] op_sel:[0,0,1] op_sel_hi:[1,1,0] neg_lo:[0,0,1] neg_hi:[0,0,1]
	v_pk_fma_f32 v[8:9], v[10:11], v[8:9], v[36:37] op_sel:[0,0,1] op_sel_hi:[1,0,0]
	;; [unrolled: 2-line block ×3, first 2 shown]
	v_mov_b32_e32 v39, v13
	v_mov_b32_e32 v25, v9
	;; [unrolled: 1-line block ×4, first 2 shown]
	v_pk_add_f32 v[8:9], v[38:39], v[24:25] neg_lo:[0,1] neg_hi:[0,1]
	v_pk_add_f32 v[4:5], v[14:15], v[30:31] neg_lo:[0,1] neg_hi:[0,1]
	;; [unrolled: 1-line block ×3, first 2 shown]
	global_store_dwordx2 v[16:17], v[8:9], off
	global_store_dwordx2 v[18:19], v[6:7], off
	;; [unrolled: 1-line block ×3, first 2 shown]
	s_andn2_b64 exec, exec, s[70:71]
	s_cbranch_execz .LBB16_17
.LBB16_3:                               ; =>This Loop Header: Depth=1
                                        ;     Child Loop BB16_7 Depth 2
                                        ;     Child Loop BB16_11 Depth 2
	s_andn2_b64 vcc, exec, s[0:1]
	s_mov_b64 s[12:13], -1
                                        ; implicit-def: $vgpr6
                                        ; implicit-def: $vgpr4
	s_cbranch_vccnz .LBB16_14
; %bb.4:                                ;   in Loop: Header=BB16_3 Depth=1
	v_mov_b32_e32 v6, 0
	s_andn2_b64 vcc, exec, s[54:55]
	v_mov_b32_e32 v4, 0
	v_mov_b32_e32 v0, 0
	s_cbranch_vccnz .LBB16_13
; %bb.5:                                ;   in Loop: Header=BB16_3 Depth=1
	s_andn2_b64 vcc, exec, s[2:3]
	s_cbranch_vccnz .LBB16_9
; %bb.6:                                ;   in Loop: Header=BB16_3 Depth=1
	v_mov_b32_e32 v8, 0
	s_mov_b32 s42, 0
	s_mov_b64 s[76:77], s[56:57]
	v_mov_b32_e32 v0, v2
	v_mov_b32_e32 v4, 0
	;; [unrolled: 1-line block ×3, first 2 shown]
.LBB16_7:                               ;   Parent Loop BB16_3 Depth=1
                                        ; =>  This Inner Loop Header: Depth=2
	s_load_dwordx8 s[12:19], s[76:77], 0x0
	s_load_dwordx4 s[44:47], s[76:77], 0x20
	s_load_dwordx4 s[48:51], s[76:77], 0xe0
	s_load_dwordx8 s[20:27], s[76:77], 0xc0
	s_add_i32 s42, s42, 4
	s_waitcnt lgkmcnt(0)
	v_mul_hi_u32 v5, s13, v0
	v_add_u32_e32 v5, v0, v5
	v_lshrrev_b32_e32 v5, s14, v5
	v_mul_lo_u32 v7, v5, s12
	v_mul_hi_u32 v9, s16, v5
	v_sub_u32_e32 v0, v0, v7
	v_add_u32_e32 v7, v5, v9
	v_lshrrev_b32_e32 v7, s17, v7
	v_mul_lo_u32 v11, v7, s15
	v_mul_hi_u32 v12, s19, v7
	v_sub_u32_e32 v5, v5, v11
	v_add_u32_e32 v11, v7, v12
	v_mul_lo_u32 v9, v0, s20
	v_mul_lo_u32 v10, v0, s22
	;; [unrolled: 1-line block ×6, first 2 shown]
	v_lshrrev_b32_e32 v11, s44, v11
	v_add3_u32 v4, v0, v4, v5
	v_add3_u32 v5, v10, v6, v13
	v_mul_lo_u32 v0, v11, s18
	v_mul_hi_u32 v6, s46, v11
	v_sub_u32_e32 v0, v7, v0
	v_add_u32_e32 v6, v11, v6
	v_add3_u32 v8, v9, v8, v12
	v_mul_lo_u32 v7, v0, s26
	v_mul_lo_u32 v9, v0, s27
	;; [unrolled: 1-line block ×3, first 2 shown]
	v_lshrrev_b32_e32 v0, s47, v6
	v_mul_lo_u32 v6, v0, s45
	s_add_u32 s76, s76, 48
	v_sub_u32_e32 v6, v11, v6
	s_addc_u32 s77, s77, 0
	v_mul_lo_u32 v11, v6, s49
	v_mul_lo_u32 v12, v6, s50
	v_mul_lo_u32 v6, v6, s51
	s_cmp_lg_u32 s41, s42
	v_add3_u32 v8, v7, v8, v11
	v_add3_u32 v6, v10, v5, v6
	;; [unrolled: 1-line block ×3, first 2 shown]
	s_cbranch_scc1 .LBB16_7
; %bb.8:                                ;   in Loop: Header=BB16_3 Depth=1
	v_mov_b32_e32 v5, v6
	s_mov_b32 s12, s41
	s_andn2_b64 vcc, exec, s[66:67]
	s_cbranch_vccz .LBB16_10
	s_branch .LBB16_12
.LBB16_9:                               ;   in Loop: Header=BB16_3 Depth=1
	v_mov_b32_e32 v0, v1
	s_mov_b32 s12, 0
	v_mov_b32_e32 v8, 0
                                        ; implicit-def: $vgpr6
	v_mov_b64_e32 v[4:5], v[0:1]
	v_mov_b32_e32 v0, v2
	s_andn2_b64 vcc, exec, s[66:67]
	s_cbranch_vccnz .LBB16_12
.LBB16_10:                              ;   in Loop: Header=BB16_3 Depth=1
	s_mul_i32 s12, s12, 12
	s_add_u32 s12, s56, s12
	s_addc_u32 s13, s57, 0
	s_mov_b32 s14, s9
.LBB16_11:                              ;   Parent Loop BB16_3 Depth=1
                                        ; =>  This Inner Loop Header: Depth=2
	s_load_dwordx2 s[16:17], s[12:13], 0x0
	s_load_dword s15, s[12:13], 0x8
	s_load_dwordx2 s[18:19], s[12:13], 0xc0
	s_load_dword s20, s[12:13], 0xc8
	v_mov_b32_e32 v6, v5
	s_waitcnt lgkmcnt(0)
	v_mul_hi_u32 v5, s17, v0
	v_add_u32_e32 v5, v0, v5
	v_lshrrev_b32_e32 v5, s15, v5
	v_mul_lo_u32 v7, v5, s16
	s_add_u32 s12, s12, 12
	v_sub_u32_e32 v10, v0, v7
	s_addc_u32 s13, s13, 0
	s_add_i32 s14, s14, -1
	v_mov_b32_e32 v0, v5
	v_mad_u64_u32 v[6:7], s[16:17], v10, s20, v[6:7]
	v_mad_u64_u32 v[4:5], s[16:17], v10, s19, v[4:5]
	s_cmp_lg_u32 s14, 0
	v_mad_u64_u32 v[8:9], s[16:17], v10, s18, v[8:9]
	v_mov_b32_e32 v5, v6
	s_cbranch_scc1 .LBB16_11
.LBB16_12:                              ;   in Loop: Header=BB16_3 Depth=1
	v_mov_b32_e32 v0, v8
.LBB16_13:                              ;   in Loop: Header=BB16_3 Depth=1
	s_mov_b64 s[12:13], 0
.LBB16_14:                              ;   in Loop: Header=BB16_3 Depth=1
	s_andn2_b64 vcc, exec, s[12:13]
	s_cbranch_vccnz .LBB16_2
; %bb.15:                               ;   in Loop: Header=BB16_3 Depth=1
	v_mul_lo_u32 v0, v3, s6
	v_mul_hi_u32 v4, v2, s6
	v_add3_u32 v0, v4, v0, v2
	v_lshrrev_b32_e32 v5, s7, v0
	v_mul_lo_u32 v0, v5, s5
	v_sub_u32_e32 v4, v2, v0
	v_mul_lo_u32 v0, v4, s40
	v_mul_lo_u32 v6, v4, s33
	s_andn2_b64 vcc, exec, s[62:63]
	v_mul_lo_u32 v4, v4, s11
	s_cbranch_vccnz .LBB16_2
; %bb.16:                               ;   in Loop: Header=BB16_3 Depth=1
	v_mul_hi_u32 v7, s4, v5
	v_add_u32_e32 v7, v5, v7
	v_lshrrev_b32_e32 v7, s10, v7
	v_mul_lo_u32 v7, v7, s8
	v_sub_u32_e32 v7, v5, v7
	v_mad_u64_u32 v[8:9], s[12:13], v7, s43, v[0:1]
	v_mad_u64_u32 v[4:5], s[12:13], v7, s60, v[4:5]
	;; [unrolled: 1-line block ×3, first 2 shown]
	v_mov_b32_e32 v0, v8
	s_branch .LBB16_2
.LBB16_17:
	s_endpgm
	.section	.rodata,"a",@progbits
	.p2align	6, 0x0
	.amdhsa_kernel _ZN2at6native12cross_kernelIN3c107complexIfEE16OffsetCalculatorILi3EjLb0EElEEviPT_PKS7_SA_T0_T1_SC_SC_
		.amdhsa_group_segment_fixed_size 0
		.amdhsa_private_segment_fixed_size 0
		.amdhsa_kernarg_size 704
		.amdhsa_user_sgpr_count 2
		.amdhsa_user_sgpr_dispatch_ptr 0
		.amdhsa_user_sgpr_queue_ptr 0
		.amdhsa_user_sgpr_kernarg_segment_ptr 1
		.amdhsa_user_sgpr_dispatch_id 0
		.amdhsa_user_sgpr_kernarg_preload_length 0
		.amdhsa_user_sgpr_kernarg_preload_offset 0
		.amdhsa_user_sgpr_private_segment_size 0
		.amdhsa_uses_dynamic_stack 0
		.amdhsa_enable_private_segment 0
		.amdhsa_system_sgpr_workgroup_id_x 1
		.amdhsa_system_sgpr_workgroup_id_y 0
		.amdhsa_system_sgpr_workgroup_id_z 0
		.amdhsa_system_sgpr_workgroup_info 0
		.amdhsa_system_vgpr_workitem_id 0
		.amdhsa_next_free_vgpr 40
		.amdhsa_next_free_sgpr 78
		.amdhsa_accum_offset 40
		.amdhsa_reserve_vcc 1
		.amdhsa_float_round_mode_32 0
		.amdhsa_float_round_mode_16_64 0
		.amdhsa_float_denorm_mode_32 3
		.amdhsa_float_denorm_mode_16_64 3
		.amdhsa_dx10_clamp 1
		.amdhsa_ieee_mode 1
		.amdhsa_fp16_overflow 0
		.amdhsa_tg_split 0
		.amdhsa_exception_fp_ieee_invalid_op 0
		.amdhsa_exception_fp_denorm_src 0
		.amdhsa_exception_fp_ieee_div_zero 0
		.amdhsa_exception_fp_ieee_overflow 0
		.amdhsa_exception_fp_ieee_underflow 0
		.amdhsa_exception_fp_ieee_inexact 0
		.amdhsa_exception_int_div_zero 0
	.end_amdhsa_kernel
	.section	.text._ZN2at6native12cross_kernelIN3c107complexIfEE16OffsetCalculatorILi3EjLb0EElEEviPT_PKS7_SA_T0_T1_SC_SC_,"axG",@progbits,_ZN2at6native12cross_kernelIN3c107complexIfEE16OffsetCalculatorILi3EjLb0EElEEviPT_PKS7_SA_T0_T1_SC_SC_,comdat
.Lfunc_end16:
	.size	_ZN2at6native12cross_kernelIN3c107complexIfEE16OffsetCalculatorILi3EjLb0EElEEviPT_PKS7_SA_T0_T1_SC_SC_, .Lfunc_end16-_ZN2at6native12cross_kernelIN3c107complexIfEE16OffsetCalculatorILi3EjLb0EElEEviPT_PKS7_SA_T0_T1_SC_SC_
                                        ; -- End function
	.set _ZN2at6native12cross_kernelIN3c107complexIfEE16OffsetCalculatorILi3EjLb0EElEEviPT_PKS7_SA_T0_T1_SC_SC_.num_vgpr, 40
	.set _ZN2at6native12cross_kernelIN3c107complexIfEE16OffsetCalculatorILi3EjLb0EElEEviPT_PKS7_SA_T0_T1_SC_SC_.num_agpr, 0
	.set _ZN2at6native12cross_kernelIN3c107complexIfEE16OffsetCalculatorILi3EjLb0EElEEviPT_PKS7_SA_T0_T1_SC_SC_.numbered_sgpr, 78
	.set _ZN2at6native12cross_kernelIN3c107complexIfEE16OffsetCalculatorILi3EjLb0EElEEviPT_PKS7_SA_T0_T1_SC_SC_.num_named_barrier, 0
	.set _ZN2at6native12cross_kernelIN3c107complexIfEE16OffsetCalculatorILi3EjLb0EElEEviPT_PKS7_SA_T0_T1_SC_SC_.private_seg_size, 0
	.set _ZN2at6native12cross_kernelIN3c107complexIfEE16OffsetCalculatorILi3EjLb0EElEEviPT_PKS7_SA_T0_T1_SC_SC_.uses_vcc, 1
	.set _ZN2at6native12cross_kernelIN3c107complexIfEE16OffsetCalculatorILi3EjLb0EElEEviPT_PKS7_SA_T0_T1_SC_SC_.uses_flat_scratch, 0
	.set _ZN2at6native12cross_kernelIN3c107complexIfEE16OffsetCalculatorILi3EjLb0EElEEviPT_PKS7_SA_T0_T1_SC_SC_.has_dyn_sized_stack, 0
	.set _ZN2at6native12cross_kernelIN3c107complexIfEE16OffsetCalculatorILi3EjLb0EElEEviPT_PKS7_SA_T0_T1_SC_SC_.has_recursion, 0
	.set _ZN2at6native12cross_kernelIN3c107complexIfEE16OffsetCalculatorILi3EjLb0EElEEviPT_PKS7_SA_T0_T1_SC_SC_.has_indirect_call, 0
	.section	.AMDGPU.csdata,"",@progbits
; Kernel info:
; codeLenInByte = 1368
; TotalNumSgprs: 84
; NumVgprs: 40
; NumAgprs: 0
; TotalNumVgprs: 40
; ScratchSize: 0
; MemoryBound: 0
; FloatMode: 240
; IeeeMode: 1
; LDSByteSize: 0 bytes/workgroup (compile time only)
; SGPRBlocks: 10
; VGPRBlocks: 4
; NumSGPRsForWavesPerEU: 84
; NumVGPRsForWavesPerEU: 40
; AccumOffset: 40
; Occupancy: 8
; WaveLimiterHint : 1
; COMPUTE_PGM_RSRC2:SCRATCH_EN: 0
; COMPUTE_PGM_RSRC2:USER_SGPR: 2
; COMPUTE_PGM_RSRC2:TRAP_HANDLER: 0
; COMPUTE_PGM_RSRC2:TGID_X_EN: 1
; COMPUTE_PGM_RSRC2:TGID_Y_EN: 0
; COMPUTE_PGM_RSRC2:TGID_Z_EN: 0
; COMPUTE_PGM_RSRC2:TIDIG_COMP_CNT: 0
; COMPUTE_PGM_RSRC3_GFX90A:ACCUM_OFFSET: 9
; COMPUTE_PGM_RSRC3_GFX90A:TG_SPLIT: 0
	.section	.text._ZN2at6native12cross_kernelIN3c107complexIfEE16OffsetCalculatorILi3EjLb0EEiEEviPT_PKS7_SA_T0_T1_SC_SC_,"axG",@progbits,_ZN2at6native12cross_kernelIN3c107complexIfEE16OffsetCalculatorILi3EjLb0EEiEEviPT_PKS7_SA_T0_T1_SC_SC_,comdat
	.protected	_ZN2at6native12cross_kernelIN3c107complexIfEE16OffsetCalculatorILi3EjLb0EEiEEviPT_PKS7_SA_T0_T1_SC_SC_ ; -- Begin function _ZN2at6native12cross_kernelIN3c107complexIfEE16OffsetCalculatorILi3EjLb0EEiEEviPT_PKS7_SA_T0_T1_SC_SC_
	.globl	_ZN2at6native12cross_kernelIN3c107complexIfEE16OffsetCalculatorILi3EjLb0EEiEEviPT_PKS7_SA_T0_T1_SC_SC_
	.p2align	8
	.type	_ZN2at6native12cross_kernelIN3c107complexIfEE16OffsetCalculatorILi3EjLb0EEiEEviPT_PKS7_SA_T0_T1_SC_SC_,@function
_ZN2at6native12cross_kernelIN3c107complexIfEE16OffsetCalculatorILi3EjLb0EEiEEviPT_PKS7_SA_T0_T1_SC_SC_: ; @_ZN2at6native12cross_kernelIN3c107complexIfEE16OffsetCalculatorILi3EjLb0EEiEEviPT_PKS7_SA_T0_T1_SC_SC_
; %bb.0:
	s_load_dword s34, s[0:1], 0x0
	s_load_dword s3, s[0:1], 0x1bc
	v_mov_b32_e32 v1, 0
	v_mov_b32_e32 v2, s2
	s_waitcnt lgkmcnt(0)
	s_ashr_i32 s35, s34, 31
	s_add_u32 s12, s0, 0x1b0
	s_addc_u32 s13, s1, 0
	s_and_b32 s3, s3, 0xffff
	v_mad_u64_u32 v[2:3], s[4:5], s3, v2, v[0:1]
	v_cmp_gt_i64_e32 vcc, s[34:35], v[2:3]
	s_and_saveexec_b64 s[4:5], vcc
	s_cbranch_execz .LBB17_17
; %bb.1:
	s_load_dwordx8 s[4:11], s[0:1], 0x20
	s_load_dwordx4 s[28:31], s[0:1], 0x8
	s_load_dwordx2 s[52:53], s[0:1], 0x18
	s_load_dwordx4 s[36:39], s[0:1], 0x1a4
	s_load_dword s2, s[12:13], 0x0
	s_waitcnt lgkmcnt(0)
	v_sub_co_u32_e64 v0, s[12:13], s4, 1
	s_xor_b64 s[54:55], s[12:13], -1
	s_load_dwordx4 s[40:43], s[0:1], 0xe4
	s_load_dwordx2 s[60:61], s[0:1], 0xf4
	s_add_u32 s56, s0, 36
	v_readfirstlane_b32 s11, v0
	s_addc_u32 s57, s1, 0
	s_min_u32 s12, s11, 15
	s_cmp_gt_u32 s4, 1
	s_cselect_b64 s[62:63], -1, 0
	s_lshl_b32 s66, s38, 1
	s_add_i32 s12, s12, 1
	s_waitcnt lgkmcnt(0)
	s_mov_b32 s11, s41
	s_mov_b32 s4, s9
	s_ashr_i32 s65, s37, 31
	s_mov_b32 s64, s37
	s_ashr_i32 s67, s66, 31
	s_ashr_i32 s37, s36, 31
	s_and_b32 s9, s12, 3
	s_and_b32 s41, s12, 28
	s_cmp_lg_u32 s9, 0
	s_cselect_b64 s[68:69], -1, 0
	s_ashr_i32 s39, s38, 31
	s_lshl_b64 s[70:71], s[64:65], 3
	s_lshl_b64 s[0:1], s[38:39], 3
	s_sub_u32 s72, 0, s0
	s_mov_b32 s59, 0
	s_mov_b32 s33, s42
	s_mul_i32 s58, s2, s3
	s_mov_b64 s[38:39], 0
	s_subb_u32 s73, 0, s1
	s_lshl_b64 s[74:75], s[36:37], 3
	v_cmp_lt_u32_e64 s[0:1], 1, v0
	v_cmp_ne_u32_e64 s[2:3], 2, v0
	s_branch .LBB17_3
.LBB17_2:                               ;   in Loop: Header=BB17_3 Depth=1
	v_mov_b32_e32 v5, v1
	v_mov_b32_e32 v7, v1
	v_lshl_add_u64 v[4:5], v[4:5], 3, s[30:31]
	v_lshl_add_u64 v[6:7], v[6:7], 3, s[52:53]
	;; [unrolled: 1-line block ×4, first 2 shown]
	global_load_dwordx2 v[12:13], v[8:9], off
	s_nop 0
	global_load_dwordx2 v[4:5], v[4:5], off
	s_nop 0
	global_load_dwordx2 v[6:7], v[6:7], off
	s_nop 0
	global_load_dwordx2 v[14:15], v[10:11], off
	v_lshl_add_u64 v[10:11], v[10:11], 0, s[72:73]
	v_lshl_add_u64 v[8:9], v[8:9], 0, s[70:71]
	global_load_dwordx2 v[10:11], v[10:11], off
	v_lshl_add_u64 v[2:3], v[2:3], 0, s[58:59]
	global_load_dwordx2 v[8:9], v[8:9], off
	v_lshl_add_u64 v[16:17], v[0:1], 3, s[28:29]
	v_cmp_le_i64_e32 vcc, s[34:35], v[2:3]
	v_lshl_add_u64 v[18:19], s[36:37], 3, v[16:17]
	s_or_b64 s[38:39], vcc, s[38:39]
	v_lshl_add_u64 v[20:21], v[18:19], 0, s[74:75]
	s_waitcnt vmcnt(3)
	v_pk_mul_f32 v[22:23], v[6:7], v[12:13] op_sel:[0,1]
	s_waitcnt vmcnt(2)
	v_pk_mul_f32 v[24:25], v[14:15], v[4:5] op_sel:[0,1]
	v_pk_mul_f32 v[26:27], v[14:15], v[12:13] op_sel:[0,1]
	v_pk_fma_f32 v[30:31], v[6:7], v[12:13], v[22:23] op_sel:[0,0,1] op_sel_hi:[1,1,0] neg_lo:[0,0,1] neg_hi:[0,0,1]
	v_pk_fma_f32 v[22:23], v[6:7], v[12:13], v[22:23] op_sel:[0,0,1] op_sel_hi:[1,0,0]
	v_pk_fma_f32 v[32:33], v[14:15], v[4:5], v[24:25] op_sel:[0,0,1] op_sel_hi:[1,1,0] neg_lo:[0,0,1] neg_hi:[0,0,1]
	v_pk_fma_f32 v[24:25], v[14:15], v[4:5], v[24:25] op_sel:[0,0,1] op_sel_hi:[1,0,0]
	s_waitcnt vmcnt(0)
	v_pk_mul_f32 v[34:35], v[6:7], v[8:9] op_sel:[0,1]
	v_pk_mul_f32 v[36:37], v[10:11], v[8:9] op_sel:[0,1]
	v_pk_mul_f32 v[28:29], v[10:11], v[4:5] op_sel:[0,1]
	v_pk_fma_f32 v[38:39], v[14:15], v[12:13], v[26:27] op_sel:[0,0,1] op_sel_hi:[1,1,0] neg_lo:[0,0,1] neg_hi:[0,0,1]
	v_pk_fma_f32 v[12:13], v[14:15], v[12:13], v[26:27] op_sel:[0,0,1] op_sel_hi:[1,0,0]
	v_mov_b32_e32 v31, v23
	v_mov_b32_e32 v33, v25
	v_pk_fma_f32 v[22:23], v[6:7], v[8:9], v[34:35] op_sel:[0,0,1] op_sel_hi:[1,1,0] neg_lo:[0,0,1] neg_hi:[0,0,1]
	v_pk_fma_f32 v[6:7], v[6:7], v[8:9], v[34:35] op_sel:[0,0,1] op_sel_hi:[1,0,0]
	v_pk_fma_f32 v[24:25], v[10:11], v[8:9], v[36:37] op_sel:[0,0,1] op_sel_hi:[1,1,0] neg_lo:[0,0,1] neg_hi:[0,0,1]
	v_pk_fma_f32 v[8:9], v[10:11], v[8:9], v[36:37] op_sel:[0,0,1] op_sel_hi:[1,0,0]
	;; [unrolled: 2-line block ×3, first 2 shown]
	v_mov_b32_e32 v39, v13
	v_mov_b32_e32 v25, v9
	;; [unrolled: 1-line block ×4, first 2 shown]
	v_pk_add_f32 v[8:9], v[38:39], v[24:25] neg_lo:[0,1] neg_hi:[0,1]
	v_pk_add_f32 v[4:5], v[14:15], v[30:31] neg_lo:[0,1] neg_hi:[0,1]
	;; [unrolled: 1-line block ×3, first 2 shown]
	global_store_dwordx2 v[16:17], v[8:9], off
	global_store_dwordx2 v[18:19], v[6:7], off
	;; [unrolled: 1-line block ×3, first 2 shown]
	s_andn2_b64 exec, exec, s[38:39]
	s_cbranch_execz .LBB17_17
.LBB17_3:                               ; =>This Loop Header: Depth=1
                                        ;     Child Loop BB17_7 Depth 2
                                        ;     Child Loop BB17_11 Depth 2
	s_andn2_b64 vcc, exec, s[0:1]
	s_mov_b64 s[12:13], -1
                                        ; implicit-def: $vgpr6
                                        ; implicit-def: $vgpr4
	s_cbranch_vccnz .LBB17_14
; %bb.4:                                ;   in Loop: Header=BB17_3 Depth=1
	v_mov_b32_e32 v6, 0
	s_andn2_b64 vcc, exec, s[54:55]
	v_mov_b32_e32 v4, 0
	v_mov_b32_e32 v0, 0
	s_cbranch_vccnz .LBB17_13
; %bb.5:                                ;   in Loop: Header=BB17_3 Depth=1
	s_andn2_b64 vcc, exec, s[2:3]
	s_cbranch_vccnz .LBB17_9
; %bb.6:                                ;   in Loop: Header=BB17_3 Depth=1
	v_mov_b32_e32 v8, 0
	s_mov_b32 s42, 0
	s_mov_b64 s[76:77], s[56:57]
	v_mov_b32_e32 v0, v2
	v_mov_b32_e32 v4, 0
	;; [unrolled: 1-line block ×3, first 2 shown]
.LBB17_7:                               ;   Parent Loop BB17_3 Depth=1
                                        ; =>  This Inner Loop Header: Depth=2
	s_load_dwordx8 s[12:19], s[76:77], 0x0
	s_load_dwordx4 s[44:47], s[76:77], 0x20
	s_load_dwordx4 s[48:51], s[76:77], 0xe0
	s_load_dwordx8 s[20:27], s[76:77], 0xc0
	s_add_i32 s42, s42, 4
	s_waitcnt lgkmcnt(0)
	v_mul_hi_u32 v5, s13, v0
	v_add_u32_e32 v5, v0, v5
	v_lshrrev_b32_e32 v5, s14, v5
	v_mul_lo_u32 v7, v5, s12
	v_mul_hi_u32 v9, s16, v5
	v_sub_u32_e32 v0, v0, v7
	v_add_u32_e32 v7, v5, v9
	v_lshrrev_b32_e32 v7, s17, v7
	v_mul_lo_u32 v11, v7, s15
	v_mul_hi_u32 v12, s19, v7
	v_sub_u32_e32 v5, v5, v11
	v_add_u32_e32 v11, v7, v12
	v_mul_lo_u32 v9, v0, s20
	v_mul_lo_u32 v10, v0, s22
	;; [unrolled: 1-line block ×6, first 2 shown]
	v_lshrrev_b32_e32 v11, s44, v11
	v_add3_u32 v4, v0, v4, v5
	v_add3_u32 v5, v10, v6, v13
	v_mul_lo_u32 v0, v11, s18
	v_mul_hi_u32 v6, s46, v11
	v_sub_u32_e32 v0, v7, v0
	v_add_u32_e32 v6, v11, v6
	v_add3_u32 v8, v9, v8, v12
	v_mul_lo_u32 v7, v0, s26
	v_mul_lo_u32 v9, v0, s27
	;; [unrolled: 1-line block ×3, first 2 shown]
	v_lshrrev_b32_e32 v0, s47, v6
	v_mul_lo_u32 v6, v0, s45
	s_add_u32 s76, s76, 48
	v_sub_u32_e32 v6, v11, v6
	s_addc_u32 s77, s77, 0
	v_mul_lo_u32 v11, v6, s49
	v_mul_lo_u32 v12, v6, s50
	;; [unrolled: 1-line block ×3, first 2 shown]
	s_cmp_lg_u32 s41, s42
	v_add3_u32 v8, v7, v8, v11
	v_add3_u32 v6, v10, v5, v6
	;; [unrolled: 1-line block ×3, first 2 shown]
	s_cbranch_scc1 .LBB17_7
; %bb.8:                                ;   in Loop: Header=BB17_3 Depth=1
	v_mov_b32_e32 v5, v6
	s_mov_b32 s12, s41
	s_andn2_b64 vcc, exec, s[68:69]
	s_cbranch_vccz .LBB17_10
	s_branch .LBB17_12
.LBB17_9:                               ;   in Loop: Header=BB17_3 Depth=1
	v_mov_b32_e32 v0, v1
	s_mov_b32 s12, 0
	v_mov_b32_e32 v8, 0
                                        ; implicit-def: $vgpr6
	v_mov_b64_e32 v[4:5], v[0:1]
	v_mov_b32_e32 v0, v2
	s_andn2_b64 vcc, exec, s[68:69]
	s_cbranch_vccnz .LBB17_12
.LBB17_10:                              ;   in Loop: Header=BB17_3 Depth=1
	s_mul_i32 s12, s12, 12
	s_add_u32 s12, s56, s12
	s_addc_u32 s13, s57, 0
	s_mov_b32 s14, s9
.LBB17_11:                              ;   Parent Loop BB17_3 Depth=1
                                        ; =>  This Inner Loop Header: Depth=2
	s_load_dwordx2 s[16:17], s[12:13], 0x0
	s_load_dword s15, s[12:13], 0x8
	s_load_dwordx2 s[18:19], s[12:13], 0xc0
	s_load_dword s20, s[12:13], 0xc8
	v_mov_b32_e32 v6, v5
	s_waitcnt lgkmcnt(0)
	v_mul_hi_u32 v5, s17, v0
	v_add_u32_e32 v5, v0, v5
	v_lshrrev_b32_e32 v5, s15, v5
	v_mul_lo_u32 v7, v5, s16
	s_add_u32 s12, s12, 12
	v_sub_u32_e32 v10, v0, v7
	s_addc_u32 s13, s13, 0
	s_add_i32 s14, s14, -1
	v_mov_b32_e32 v0, v5
	v_mad_u64_u32 v[6:7], s[16:17], v10, s20, v[6:7]
	v_mad_u64_u32 v[4:5], s[16:17], v10, s19, v[4:5]
	s_cmp_lg_u32 s14, 0
	v_mad_u64_u32 v[8:9], s[16:17], v10, s18, v[8:9]
	v_mov_b32_e32 v5, v6
	s_cbranch_scc1 .LBB17_11
.LBB17_12:                              ;   in Loop: Header=BB17_3 Depth=1
	v_mov_b32_e32 v0, v8
.LBB17_13:                              ;   in Loop: Header=BB17_3 Depth=1
	s_mov_b64 s[12:13], 0
.LBB17_14:                              ;   in Loop: Header=BB17_3 Depth=1
	s_andn2_b64 vcc, exec, s[12:13]
	s_cbranch_vccnz .LBB17_2
; %bb.15:                               ;   in Loop: Header=BB17_3 Depth=1
	v_mul_lo_u32 v0, v3, s6
	v_mul_hi_u32 v4, v2, s6
	v_add3_u32 v0, v4, v0, v2
	v_lshrrev_b32_e32 v5, s7, v0
	v_mul_lo_u32 v0, v5, s5
	v_sub_u32_e32 v4, v2, v0
	v_mul_lo_u32 v0, v4, s40
	v_mul_lo_u32 v6, v4, s33
	s_andn2_b64 vcc, exec, s[62:63]
	v_mul_lo_u32 v4, v4, s11
	s_cbranch_vccnz .LBB17_2
; %bb.16:                               ;   in Loop: Header=BB17_3 Depth=1
	v_mul_hi_u32 v7, s4, v5
	v_add_u32_e32 v7, v5, v7
	v_lshrrev_b32_e32 v7, s10, v7
	v_mul_lo_u32 v7, v7, s8
	v_sub_u32_e32 v7, v5, v7
	v_mad_u64_u32 v[8:9], s[12:13], v7, s43, v[0:1]
	v_mad_u64_u32 v[4:5], s[12:13], v7, s60, v[4:5]
	;; [unrolled: 1-line block ×3, first 2 shown]
	v_mov_b32_e32 v0, v8
	s_branch .LBB17_2
.LBB17_17:
	s_endpgm
	.section	.rodata,"a",@progbits
	.p2align	6, 0x0
	.amdhsa_kernel _ZN2at6native12cross_kernelIN3c107complexIfEE16OffsetCalculatorILi3EjLb0EEiEEviPT_PKS7_SA_T0_T1_SC_SC_
		.amdhsa_group_segment_fixed_size 0
		.amdhsa_private_segment_fixed_size 0
		.amdhsa_kernarg_size 688
		.amdhsa_user_sgpr_count 2
		.amdhsa_user_sgpr_dispatch_ptr 0
		.amdhsa_user_sgpr_queue_ptr 0
		.amdhsa_user_sgpr_kernarg_segment_ptr 1
		.amdhsa_user_sgpr_dispatch_id 0
		.amdhsa_user_sgpr_kernarg_preload_length 0
		.amdhsa_user_sgpr_kernarg_preload_offset 0
		.amdhsa_user_sgpr_private_segment_size 0
		.amdhsa_uses_dynamic_stack 0
		.amdhsa_enable_private_segment 0
		.amdhsa_system_sgpr_workgroup_id_x 1
		.amdhsa_system_sgpr_workgroup_id_y 0
		.amdhsa_system_sgpr_workgroup_id_z 0
		.amdhsa_system_sgpr_workgroup_info 0
		.amdhsa_system_vgpr_workitem_id 0
		.amdhsa_next_free_vgpr 40
		.amdhsa_next_free_sgpr 78
		.amdhsa_accum_offset 40
		.amdhsa_reserve_vcc 1
		.amdhsa_float_round_mode_32 0
		.amdhsa_float_round_mode_16_64 0
		.amdhsa_float_denorm_mode_32 3
		.amdhsa_float_denorm_mode_16_64 3
		.amdhsa_dx10_clamp 1
		.amdhsa_ieee_mode 1
		.amdhsa_fp16_overflow 0
		.amdhsa_tg_split 0
		.amdhsa_exception_fp_ieee_invalid_op 0
		.amdhsa_exception_fp_denorm_src 0
		.amdhsa_exception_fp_ieee_div_zero 0
		.amdhsa_exception_fp_ieee_overflow 0
		.amdhsa_exception_fp_ieee_underflow 0
		.amdhsa_exception_fp_ieee_inexact 0
		.amdhsa_exception_int_div_zero 0
	.end_amdhsa_kernel
	.section	.text._ZN2at6native12cross_kernelIN3c107complexIfEE16OffsetCalculatorILi3EjLb0EEiEEviPT_PKS7_SA_T0_T1_SC_SC_,"axG",@progbits,_ZN2at6native12cross_kernelIN3c107complexIfEE16OffsetCalculatorILi3EjLb0EEiEEviPT_PKS7_SA_T0_T1_SC_SC_,comdat
.Lfunc_end17:
	.size	_ZN2at6native12cross_kernelIN3c107complexIfEE16OffsetCalculatorILi3EjLb0EEiEEviPT_PKS7_SA_T0_T1_SC_SC_, .Lfunc_end17-_ZN2at6native12cross_kernelIN3c107complexIfEE16OffsetCalculatorILi3EjLb0EEiEEviPT_PKS7_SA_T0_T1_SC_SC_
                                        ; -- End function
	.set _ZN2at6native12cross_kernelIN3c107complexIfEE16OffsetCalculatorILi3EjLb0EEiEEviPT_PKS7_SA_T0_T1_SC_SC_.num_vgpr, 40
	.set _ZN2at6native12cross_kernelIN3c107complexIfEE16OffsetCalculatorILi3EjLb0EEiEEviPT_PKS7_SA_T0_T1_SC_SC_.num_agpr, 0
	.set _ZN2at6native12cross_kernelIN3c107complexIfEE16OffsetCalculatorILi3EjLb0EEiEEviPT_PKS7_SA_T0_T1_SC_SC_.numbered_sgpr, 78
	.set _ZN2at6native12cross_kernelIN3c107complexIfEE16OffsetCalculatorILi3EjLb0EEiEEviPT_PKS7_SA_T0_T1_SC_SC_.num_named_barrier, 0
	.set _ZN2at6native12cross_kernelIN3c107complexIfEE16OffsetCalculatorILi3EjLb0EEiEEviPT_PKS7_SA_T0_T1_SC_SC_.private_seg_size, 0
	.set _ZN2at6native12cross_kernelIN3c107complexIfEE16OffsetCalculatorILi3EjLb0EEiEEviPT_PKS7_SA_T0_T1_SC_SC_.uses_vcc, 1
	.set _ZN2at6native12cross_kernelIN3c107complexIfEE16OffsetCalculatorILi3EjLb0EEiEEviPT_PKS7_SA_T0_T1_SC_SC_.uses_flat_scratch, 0
	.set _ZN2at6native12cross_kernelIN3c107complexIfEE16OffsetCalculatorILi3EjLb0EEiEEviPT_PKS7_SA_T0_T1_SC_SC_.has_dyn_sized_stack, 0
	.set _ZN2at6native12cross_kernelIN3c107complexIfEE16OffsetCalculatorILi3EjLb0EEiEEviPT_PKS7_SA_T0_T1_SC_SC_.has_recursion, 0
	.set _ZN2at6native12cross_kernelIN3c107complexIfEE16OffsetCalculatorILi3EjLb0EEiEEviPT_PKS7_SA_T0_T1_SC_SC_.has_indirect_call, 0
	.section	.AMDGPU.csdata,"",@progbits
; Kernel info:
; codeLenInByte = 1384
; TotalNumSgprs: 84
; NumVgprs: 40
; NumAgprs: 0
; TotalNumVgprs: 40
; ScratchSize: 0
; MemoryBound: 0
; FloatMode: 240
; IeeeMode: 1
; LDSByteSize: 0 bytes/workgroup (compile time only)
; SGPRBlocks: 10
; VGPRBlocks: 4
; NumSGPRsForWavesPerEU: 84
; NumVGPRsForWavesPerEU: 40
; AccumOffset: 40
; Occupancy: 8
; WaveLimiterHint : 1
; COMPUTE_PGM_RSRC2:SCRATCH_EN: 0
; COMPUTE_PGM_RSRC2:USER_SGPR: 2
; COMPUTE_PGM_RSRC2:TRAP_HANDLER: 0
; COMPUTE_PGM_RSRC2:TGID_X_EN: 1
; COMPUTE_PGM_RSRC2:TGID_Y_EN: 0
; COMPUTE_PGM_RSRC2:TGID_Z_EN: 0
; COMPUTE_PGM_RSRC2:TIDIG_COMP_CNT: 0
; COMPUTE_PGM_RSRC3_GFX90A:ACCUM_OFFSET: 9
; COMPUTE_PGM_RSRC3_GFX90A:TG_SPLIT: 0
	.section	.text._ZN2at6native12cross_kernelIN3c104HalfE16OffsetCalculatorILi3EjLb0EElEEviPT_PKS6_S9_T0_T1_SB_SB_,"axG",@progbits,_ZN2at6native12cross_kernelIN3c104HalfE16OffsetCalculatorILi3EjLb0EElEEviPT_PKS6_S9_T0_T1_SB_SB_,comdat
	.protected	_ZN2at6native12cross_kernelIN3c104HalfE16OffsetCalculatorILi3EjLb0EElEEviPT_PKS6_S9_T0_T1_SB_SB_ ; -- Begin function _ZN2at6native12cross_kernelIN3c104HalfE16OffsetCalculatorILi3EjLb0EElEEviPT_PKS6_S9_T0_T1_SB_SB_
	.globl	_ZN2at6native12cross_kernelIN3c104HalfE16OffsetCalculatorILi3EjLb0EElEEviPT_PKS6_S9_T0_T1_SB_SB_
	.p2align	8
	.type	_ZN2at6native12cross_kernelIN3c104HalfE16OffsetCalculatorILi3EjLb0EElEEviPT_PKS6_S9_T0_T1_SB_SB_,@function
_ZN2at6native12cross_kernelIN3c104HalfE16OffsetCalculatorILi3EjLb0EElEEviPT_PKS6_S9_T0_T1_SB_SB_: ; @_ZN2at6native12cross_kernelIN3c104HalfE16OffsetCalculatorILi3EjLb0EElEEviPT_PKS6_S9_T0_T1_SB_SB_
; %bb.0:
	s_load_dword s34, s[0:1], 0x0
	s_load_dword s3, s[0:1], 0x1cc
	v_mov_b32_e32 v1, 0
	v_mov_b32_e32 v2, s2
	s_waitcnt lgkmcnt(0)
	s_ashr_i32 s35, s34, 31
	s_add_u32 s12, s0, 0x1c0
	s_addc_u32 s13, s1, 0
	s_and_b32 s3, s3, 0xffff
	v_mad_u64_u32 v[2:3], s[4:5], s3, v2, v[0:1]
	v_cmp_gt_i64_e32 vcc, s[34:35], v[2:3]
	s_and_saveexec_b64 s[4:5], vcc
	s_cbranch_execz .LBB18_17
; %bb.1:
	s_load_dwordx4 s[28:31], s[0:1], 0x8
	s_load_dwordx2 s[52:53], s[0:1], 0x18
	s_load_dwordx8 s[4:11], s[0:1], 0x20
	s_load_dwordx2 s[14:15], s[0:1], 0x1b8
	s_load_dwordx4 s[36:39], s[0:1], 0x1a8
	s_load_dword s2, s[12:13], 0x0
	s_load_dwordx4 s[40:43], s[0:1], 0xe4
	s_load_dwordx2 s[60:61], s[0:1], 0xf4
	s_waitcnt lgkmcnt(0)
	v_sub_co_u32_e64 v0, s[12:13], s4, 1
	s_xor_b64 s[54:55], s[12:13], -1
	s_add_u32 s56, s0, 36
	v_readfirstlane_b32 s11, v0
	s_addc_u32 s57, s1, 0
	s_min_u32 s12, s11, 15
	s_cmp_gt_u32 s4, 1
	s_cselect_b64 s[62:63], -1, 0
	s_add_i32 s12, s12, 1
	s_mov_b32 s11, s41
	s_mov_b32 s4, s9
	s_lshl_b64 s[64:65], s[14:15], 2
	s_and_b32 s9, s12, 3
	s_and_b32 s41, s12, 28
	s_cmp_lg_u32 s9, 0
	s_cselect_b64 s[66:67], -1, 0
	s_lshl_b64 s[68:69], s[38:39], 1
	s_lshl_b64 s[0:1], s[14:15], 1
	s_sub_u32 s72, 0, s0
	s_mov_b32 s59, 0
	s_mov_b32 s33, s42
	s_mul_i32 s58, s2, s3
	s_mov_b64 s[70:71], 0
	s_subb_u32 s73, 0, s1
	s_lshl_b64 s[74:75], s[36:37], 1
	v_cmp_lt_u32_e64 s[0:1], 1, v0
	v_cmp_ne_u32_e64 s[2:3], 2, v0
	s_branch .LBB18_3
.LBB18_2:                               ;   in Loop: Header=BB18_3 Depth=1
	v_mov_b32_e32 v5, v1
	v_mov_b32_e32 v7, v1
	v_lshl_add_u64 v[4:5], v[4:5], 1, s[30:31]
	v_lshl_add_u64 v[6:7], v[6:7], 1, s[52:53]
	;; [unrolled: 1-line block ×4, first 2 shown]
	global_load_ushort v12, v[8:9], off
	global_load_ushort v13, v[10:11], off
	v_lshl_add_u64 v[8:9], v[8:9], 0, s[68:69]
	v_lshl_add_u64 v[10:11], v[10:11], 0, s[72:73]
	global_load_ushort v14, v[8:9], off
	global_load_ushort v15, v[4:5], off
	;; [unrolled: 1-line block ×3, first 2 shown]
	s_nop 0
	global_load_ushort v10, v[10:11], off
	v_lshl_add_u64 v[2:3], v[2:3], 0, s[58:59]
	v_lshl_add_u64 v[4:5], v[0:1], 1, s[28:29]
	v_cmp_le_i64_e32 vcc, s[34:35], v[2:3]
	v_lshl_add_u64 v[6:7], s[36:37], 1, v[4:5]
	s_or_b64 s[70:71], vcc, s[70:71]
	v_lshl_add_u64 v[8:9], v[6:7], 0, s[74:75]
	s_waitcnt vmcnt(2)
	v_mul_f16_e32 v0, v13, v15
	s_waitcnt vmcnt(1)
	v_mul_f16_e32 v11, v12, v16
	;; [unrolled: 2-line block ×3, first 2 shown]
	v_fma_f16 v10, v10, v15, -v11
	v_fma_f16 v11, v12, v13, -v17
	;; [unrolled: 1-line block ×3, first 2 shown]
	global_store_short v[4:5], v11, off
	global_store_short v[6:7], v0, off
	;; [unrolled: 1-line block ×3, first 2 shown]
	s_andn2_b64 exec, exec, s[70:71]
	s_cbranch_execz .LBB18_17
.LBB18_3:                               ; =>This Loop Header: Depth=1
                                        ;     Child Loop BB18_7 Depth 2
                                        ;     Child Loop BB18_11 Depth 2
	s_andn2_b64 vcc, exec, s[0:1]
	s_mov_b64 s[12:13], -1
                                        ; implicit-def: $vgpr6
                                        ; implicit-def: $vgpr4
	s_cbranch_vccnz .LBB18_14
; %bb.4:                                ;   in Loop: Header=BB18_3 Depth=1
	v_mov_b32_e32 v6, 0
	s_andn2_b64 vcc, exec, s[54:55]
	v_mov_b32_e32 v4, 0
	v_mov_b32_e32 v0, 0
	s_cbranch_vccnz .LBB18_13
; %bb.5:                                ;   in Loop: Header=BB18_3 Depth=1
	s_andn2_b64 vcc, exec, s[2:3]
	s_cbranch_vccnz .LBB18_9
; %bb.6:                                ;   in Loop: Header=BB18_3 Depth=1
	v_mov_b32_e32 v8, 0
	s_mov_b32 s42, 0
	s_mov_b64 s[76:77], s[56:57]
	v_mov_b32_e32 v0, v2
	v_mov_b32_e32 v4, 0
	;; [unrolled: 1-line block ×3, first 2 shown]
.LBB18_7:                               ;   Parent Loop BB18_3 Depth=1
                                        ; =>  This Inner Loop Header: Depth=2
	s_load_dwordx8 s[12:19], s[76:77], 0x0
	s_load_dwordx4 s[44:47], s[76:77], 0x20
	s_load_dwordx4 s[48:51], s[76:77], 0xe0
	s_load_dwordx8 s[20:27], s[76:77], 0xc0
	s_add_i32 s42, s42, 4
	s_waitcnt lgkmcnt(0)
	v_mul_hi_u32 v5, s13, v0
	v_add_u32_e32 v5, v0, v5
	v_lshrrev_b32_e32 v5, s14, v5
	v_mul_lo_u32 v7, v5, s12
	v_mul_hi_u32 v9, s16, v5
	v_sub_u32_e32 v0, v0, v7
	v_add_u32_e32 v7, v5, v9
	v_lshrrev_b32_e32 v7, s17, v7
	v_mul_lo_u32 v11, v7, s15
	v_mul_hi_u32 v12, s19, v7
	v_sub_u32_e32 v5, v5, v11
	v_add_u32_e32 v11, v7, v12
	v_mul_lo_u32 v9, v0, s20
	v_mul_lo_u32 v10, v0, s22
	;; [unrolled: 1-line block ×6, first 2 shown]
	v_lshrrev_b32_e32 v11, s44, v11
	v_add3_u32 v4, v0, v4, v5
	v_add3_u32 v5, v10, v6, v13
	v_mul_lo_u32 v0, v11, s18
	v_mul_hi_u32 v6, s46, v11
	v_sub_u32_e32 v0, v7, v0
	v_add_u32_e32 v6, v11, v6
	v_add3_u32 v8, v9, v8, v12
	v_mul_lo_u32 v7, v0, s26
	v_mul_lo_u32 v9, v0, s27
	v_mul_lo_u32 v10, v0, s48
	v_lshrrev_b32_e32 v0, s47, v6
	v_mul_lo_u32 v6, v0, s45
	s_add_u32 s76, s76, 48
	v_sub_u32_e32 v6, v11, v6
	s_addc_u32 s77, s77, 0
	v_mul_lo_u32 v11, v6, s49
	v_mul_lo_u32 v12, v6, s50
	;; [unrolled: 1-line block ×3, first 2 shown]
	s_cmp_lg_u32 s41, s42
	v_add3_u32 v8, v7, v8, v11
	v_add3_u32 v6, v10, v5, v6
	;; [unrolled: 1-line block ×3, first 2 shown]
	s_cbranch_scc1 .LBB18_7
; %bb.8:                                ;   in Loop: Header=BB18_3 Depth=1
	v_mov_b32_e32 v5, v6
	s_mov_b32 s12, s41
	s_andn2_b64 vcc, exec, s[66:67]
	s_cbranch_vccz .LBB18_10
	s_branch .LBB18_12
.LBB18_9:                               ;   in Loop: Header=BB18_3 Depth=1
	v_mov_b32_e32 v0, v1
	s_mov_b32 s12, 0
	v_mov_b32_e32 v8, 0
                                        ; implicit-def: $vgpr6
	v_mov_b64_e32 v[4:5], v[0:1]
	v_mov_b32_e32 v0, v2
	s_andn2_b64 vcc, exec, s[66:67]
	s_cbranch_vccnz .LBB18_12
.LBB18_10:                              ;   in Loop: Header=BB18_3 Depth=1
	s_mul_i32 s12, s12, 12
	s_add_u32 s12, s56, s12
	s_addc_u32 s13, s57, 0
	s_mov_b32 s14, s9
.LBB18_11:                              ;   Parent Loop BB18_3 Depth=1
                                        ; =>  This Inner Loop Header: Depth=2
	s_load_dwordx2 s[16:17], s[12:13], 0x0
	s_load_dword s15, s[12:13], 0x8
	s_load_dwordx2 s[18:19], s[12:13], 0xc0
	s_load_dword s20, s[12:13], 0xc8
	v_mov_b32_e32 v6, v5
	s_waitcnt lgkmcnt(0)
	v_mul_hi_u32 v5, s17, v0
	v_add_u32_e32 v5, v0, v5
	v_lshrrev_b32_e32 v5, s15, v5
	v_mul_lo_u32 v7, v5, s16
	s_add_u32 s12, s12, 12
	v_sub_u32_e32 v10, v0, v7
	s_addc_u32 s13, s13, 0
	s_add_i32 s14, s14, -1
	v_mov_b32_e32 v0, v5
	v_mad_u64_u32 v[6:7], s[16:17], v10, s20, v[6:7]
	v_mad_u64_u32 v[4:5], s[16:17], v10, s19, v[4:5]
	s_cmp_lg_u32 s14, 0
	v_mad_u64_u32 v[8:9], s[16:17], v10, s18, v[8:9]
	v_mov_b32_e32 v5, v6
	s_cbranch_scc1 .LBB18_11
.LBB18_12:                              ;   in Loop: Header=BB18_3 Depth=1
	v_mov_b32_e32 v0, v8
.LBB18_13:                              ;   in Loop: Header=BB18_3 Depth=1
	s_mov_b64 s[12:13], 0
.LBB18_14:                              ;   in Loop: Header=BB18_3 Depth=1
	s_andn2_b64 vcc, exec, s[12:13]
	s_cbranch_vccnz .LBB18_2
; %bb.15:                               ;   in Loop: Header=BB18_3 Depth=1
	v_mul_lo_u32 v0, v3, s6
	v_mul_hi_u32 v4, v2, s6
	v_add3_u32 v0, v4, v0, v2
	v_lshrrev_b32_e32 v5, s7, v0
	v_mul_lo_u32 v0, v5, s5
	v_sub_u32_e32 v4, v2, v0
	v_mul_lo_u32 v0, v4, s40
	v_mul_lo_u32 v6, v4, s33
	s_andn2_b64 vcc, exec, s[62:63]
	v_mul_lo_u32 v4, v4, s11
	s_cbranch_vccnz .LBB18_2
; %bb.16:                               ;   in Loop: Header=BB18_3 Depth=1
	v_mul_hi_u32 v7, s4, v5
	v_add_u32_e32 v7, v5, v7
	v_lshrrev_b32_e32 v7, s10, v7
	v_mul_lo_u32 v7, v7, s8
	v_sub_u32_e32 v7, v5, v7
	v_mad_u64_u32 v[8:9], s[12:13], v7, s43, v[0:1]
	v_mad_u64_u32 v[4:5], s[12:13], v7, s60, v[4:5]
	;; [unrolled: 1-line block ×3, first 2 shown]
	v_mov_b32_e32 v0, v8
	s_branch .LBB18_2
.LBB18_17:
	s_endpgm
	.section	.rodata,"a",@progbits
	.p2align	6, 0x0
	.amdhsa_kernel _ZN2at6native12cross_kernelIN3c104HalfE16OffsetCalculatorILi3EjLb0EElEEviPT_PKS6_S9_T0_T1_SB_SB_
		.amdhsa_group_segment_fixed_size 0
		.amdhsa_private_segment_fixed_size 0
		.amdhsa_kernarg_size 704
		.amdhsa_user_sgpr_count 2
		.amdhsa_user_sgpr_dispatch_ptr 0
		.amdhsa_user_sgpr_queue_ptr 0
		.amdhsa_user_sgpr_kernarg_segment_ptr 1
		.amdhsa_user_sgpr_dispatch_id 0
		.amdhsa_user_sgpr_kernarg_preload_length 0
		.amdhsa_user_sgpr_kernarg_preload_offset 0
		.amdhsa_user_sgpr_private_segment_size 0
		.amdhsa_uses_dynamic_stack 0
		.amdhsa_enable_private_segment 0
		.amdhsa_system_sgpr_workgroup_id_x 1
		.amdhsa_system_sgpr_workgroup_id_y 0
		.amdhsa_system_sgpr_workgroup_id_z 0
		.amdhsa_system_sgpr_workgroup_info 0
		.amdhsa_system_vgpr_workitem_id 0
		.amdhsa_next_free_vgpr 18
		.amdhsa_next_free_sgpr 78
		.amdhsa_accum_offset 20
		.amdhsa_reserve_vcc 1
		.amdhsa_float_round_mode_32 0
		.amdhsa_float_round_mode_16_64 0
		.amdhsa_float_denorm_mode_32 3
		.amdhsa_float_denorm_mode_16_64 3
		.amdhsa_dx10_clamp 1
		.amdhsa_ieee_mode 1
		.amdhsa_fp16_overflow 0
		.amdhsa_tg_split 0
		.amdhsa_exception_fp_ieee_invalid_op 0
		.amdhsa_exception_fp_denorm_src 0
		.amdhsa_exception_fp_ieee_div_zero 0
		.amdhsa_exception_fp_ieee_overflow 0
		.amdhsa_exception_fp_ieee_underflow 0
		.amdhsa_exception_fp_ieee_inexact 0
		.amdhsa_exception_int_div_zero 0
	.end_amdhsa_kernel
	.section	.text._ZN2at6native12cross_kernelIN3c104HalfE16OffsetCalculatorILi3EjLb0EElEEviPT_PKS6_S9_T0_T1_SB_SB_,"axG",@progbits,_ZN2at6native12cross_kernelIN3c104HalfE16OffsetCalculatorILi3EjLb0EElEEviPT_PKS6_S9_T0_T1_SB_SB_,comdat
.Lfunc_end18:
	.size	_ZN2at6native12cross_kernelIN3c104HalfE16OffsetCalculatorILi3EjLb0EElEEviPT_PKS6_S9_T0_T1_SB_SB_, .Lfunc_end18-_ZN2at6native12cross_kernelIN3c104HalfE16OffsetCalculatorILi3EjLb0EElEEviPT_PKS6_S9_T0_T1_SB_SB_
                                        ; -- End function
	.set _ZN2at6native12cross_kernelIN3c104HalfE16OffsetCalculatorILi3EjLb0EElEEviPT_PKS6_S9_T0_T1_SB_SB_.num_vgpr, 18
	.set _ZN2at6native12cross_kernelIN3c104HalfE16OffsetCalculatorILi3EjLb0EElEEviPT_PKS6_S9_T0_T1_SB_SB_.num_agpr, 0
	.set _ZN2at6native12cross_kernelIN3c104HalfE16OffsetCalculatorILi3EjLb0EElEEviPT_PKS6_S9_T0_T1_SB_SB_.numbered_sgpr, 78
	.set _ZN2at6native12cross_kernelIN3c104HalfE16OffsetCalculatorILi3EjLb0EElEEviPT_PKS6_S9_T0_T1_SB_SB_.num_named_barrier, 0
	.set _ZN2at6native12cross_kernelIN3c104HalfE16OffsetCalculatorILi3EjLb0EElEEviPT_PKS6_S9_T0_T1_SB_SB_.private_seg_size, 0
	.set _ZN2at6native12cross_kernelIN3c104HalfE16OffsetCalculatorILi3EjLb0EElEEviPT_PKS6_S9_T0_T1_SB_SB_.uses_vcc, 1
	.set _ZN2at6native12cross_kernelIN3c104HalfE16OffsetCalculatorILi3EjLb0EElEEviPT_PKS6_S9_T0_T1_SB_SB_.uses_flat_scratch, 0
	.set _ZN2at6native12cross_kernelIN3c104HalfE16OffsetCalculatorILi3EjLb0EElEEviPT_PKS6_S9_T0_T1_SB_SB_.has_dyn_sized_stack, 0
	.set _ZN2at6native12cross_kernelIN3c104HalfE16OffsetCalculatorILi3EjLb0EElEEviPT_PKS6_S9_T0_T1_SB_SB_.has_recursion, 0
	.set _ZN2at6native12cross_kernelIN3c104HalfE16OffsetCalculatorILi3EjLb0EElEEviPT_PKS6_S9_T0_T1_SB_SB_.has_indirect_call, 0
	.section	.AMDGPU.csdata,"",@progbits
; Kernel info:
; codeLenInByte = 1204
; TotalNumSgprs: 84
; NumVgprs: 18
; NumAgprs: 0
; TotalNumVgprs: 18
; ScratchSize: 0
; MemoryBound: 0
; FloatMode: 240
; IeeeMode: 1
; LDSByteSize: 0 bytes/workgroup (compile time only)
; SGPRBlocks: 10
; VGPRBlocks: 2
; NumSGPRsForWavesPerEU: 84
; NumVGPRsForWavesPerEU: 18
; AccumOffset: 20
; Occupancy: 8
; WaveLimiterHint : 1
; COMPUTE_PGM_RSRC2:SCRATCH_EN: 0
; COMPUTE_PGM_RSRC2:USER_SGPR: 2
; COMPUTE_PGM_RSRC2:TRAP_HANDLER: 0
; COMPUTE_PGM_RSRC2:TGID_X_EN: 1
; COMPUTE_PGM_RSRC2:TGID_Y_EN: 0
; COMPUTE_PGM_RSRC2:TGID_Z_EN: 0
; COMPUTE_PGM_RSRC2:TIDIG_COMP_CNT: 0
; COMPUTE_PGM_RSRC3_GFX90A:ACCUM_OFFSET: 4
; COMPUTE_PGM_RSRC3_GFX90A:TG_SPLIT: 0
	.section	.text._ZN2at6native12cross_kernelIN3c104HalfE16OffsetCalculatorILi3EjLb0EEiEEviPT_PKS6_S9_T0_T1_SB_SB_,"axG",@progbits,_ZN2at6native12cross_kernelIN3c104HalfE16OffsetCalculatorILi3EjLb0EEiEEviPT_PKS6_S9_T0_T1_SB_SB_,comdat
	.protected	_ZN2at6native12cross_kernelIN3c104HalfE16OffsetCalculatorILi3EjLb0EEiEEviPT_PKS6_S9_T0_T1_SB_SB_ ; -- Begin function _ZN2at6native12cross_kernelIN3c104HalfE16OffsetCalculatorILi3EjLb0EEiEEviPT_PKS6_S9_T0_T1_SB_SB_
	.globl	_ZN2at6native12cross_kernelIN3c104HalfE16OffsetCalculatorILi3EjLb0EEiEEviPT_PKS6_S9_T0_T1_SB_SB_
	.p2align	8
	.type	_ZN2at6native12cross_kernelIN3c104HalfE16OffsetCalculatorILi3EjLb0EEiEEviPT_PKS6_S9_T0_T1_SB_SB_,@function
_ZN2at6native12cross_kernelIN3c104HalfE16OffsetCalculatorILi3EjLb0EEiEEviPT_PKS6_S9_T0_T1_SB_SB_: ; @_ZN2at6native12cross_kernelIN3c104HalfE16OffsetCalculatorILi3EjLb0EEiEEviPT_PKS6_S9_T0_T1_SB_SB_
; %bb.0:
	s_load_dword s34, s[0:1], 0x0
	s_load_dword s3, s[0:1], 0x1bc
	v_mov_b32_e32 v1, 0
	v_mov_b32_e32 v2, s2
	s_waitcnt lgkmcnt(0)
	s_ashr_i32 s35, s34, 31
	s_add_u32 s12, s0, 0x1b0
	s_addc_u32 s13, s1, 0
	s_and_b32 s3, s3, 0xffff
	v_mad_u64_u32 v[2:3], s[4:5], s3, v2, v[0:1]
	v_cmp_gt_i64_e32 vcc, s[34:35], v[2:3]
	s_and_saveexec_b64 s[4:5], vcc
	s_cbranch_execz .LBB19_17
; %bb.1:
	s_load_dwordx8 s[4:11], s[0:1], 0x20
	s_load_dwordx4 s[28:31], s[0:1], 0x8
	s_load_dwordx2 s[52:53], s[0:1], 0x18
	s_load_dwordx4 s[36:39], s[0:1], 0x1a4
	s_load_dword s2, s[12:13], 0x0
	s_waitcnt lgkmcnt(0)
	v_sub_co_u32_e64 v0, s[12:13], s4, 1
	s_xor_b64 s[54:55], s[12:13], -1
	s_load_dwordx4 s[40:43], s[0:1], 0xe4
	s_load_dwordx2 s[60:61], s[0:1], 0xf4
	s_add_u32 s56, s0, 36
	v_readfirstlane_b32 s11, v0
	s_addc_u32 s57, s1, 0
	s_min_u32 s12, s11, 15
	s_cmp_gt_u32 s4, 1
	s_cselect_b64 s[62:63], -1, 0
	s_lshl_b32 s66, s38, 1
	s_add_i32 s12, s12, 1
	s_waitcnt lgkmcnt(0)
	s_mov_b32 s11, s41
	s_mov_b32 s4, s9
	s_ashr_i32 s65, s37, 31
	s_mov_b32 s64, s37
	s_ashr_i32 s67, s66, 31
	s_ashr_i32 s37, s36, 31
	s_and_b32 s9, s12, 3
	s_and_b32 s41, s12, 28
	s_cmp_lg_u32 s9, 0
	s_cselect_b64 s[68:69], -1, 0
	s_ashr_i32 s39, s38, 31
	s_lshl_b64 s[70:71], s[64:65], 1
	s_lshl_b64 s[0:1], s[38:39], 1
	s_sub_u32 s72, 0, s0
	s_mov_b32 s59, 0
	s_mov_b32 s33, s42
	s_mul_i32 s58, s2, s3
	s_mov_b64 s[38:39], 0
	s_subb_u32 s73, 0, s1
	s_lshl_b64 s[74:75], s[36:37], 1
	v_cmp_lt_u32_e64 s[0:1], 1, v0
	v_cmp_ne_u32_e64 s[2:3], 2, v0
	s_branch .LBB19_3
.LBB19_2:                               ;   in Loop: Header=BB19_3 Depth=1
	v_mov_b32_e32 v5, v1
	v_mov_b32_e32 v7, v1
	v_lshl_add_u64 v[4:5], v[4:5], 1, s[30:31]
	v_lshl_add_u64 v[6:7], v[6:7], 1, s[52:53]
	;; [unrolled: 1-line block ×4, first 2 shown]
	global_load_ushort v12, v[8:9], off
	global_load_ushort v13, v[10:11], off
	v_lshl_add_u64 v[8:9], v[8:9], 0, s[70:71]
	v_lshl_add_u64 v[10:11], v[10:11], 0, s[72:73]
	global_load_ushort v14, v[8:9], off
	global_load_ushort v15, v[4:5], off
	;; [unrolled: 1-line block ×3, first 2 shown]
	s_nop 0
	global_load_ushort v10, v[10:11], off
	v_lshl_add_u64 v[2:3], v[2:3], 0, s[58:59]
	v_lshl_add_u64 v[4:5], v[0:1], 1, s[28:29]
	v_cmp_le_i64_e32 vcc, s[34:35], v[2:3]
	v_lshl_add_u64 v[6:7], s[36:37], 1, v[4:5]
	s_or_b64 s[38:39], vcc, s[38:39]
	v_lshl_add_u64 v[8:9], v[6:7], 0, s[74:75]
	s_waitcnt vmcnt(2)
	v_mul_f16_e32 v0, v13, v15
	s_waitcnt vmcnt(1)
	v_mul_f16_e32 v11, v12, v16
	;; [unrolled: 2-line block ×3, first 2 shown]
	v_fma_f16 v10, v10, v15, -v11
	v_fma_f16 v11, v12, v13, -v17
	;; [unrolled: 1-line block ×3, first 2 shown]
	global_store_short v[4:5], v11, off
	global_store_short v[6:7], v0, off
	;; [unrolled: 1-line block ×3, first 2 shown]
	s_andn2_b64 exec, exec, s[38:39]
	s_cbranch_execz .LBB19_17
.LBB19_3:                               ; =>This Loop Header: Depth=1
                                        ;     Child Loop BB19_7 Depth 2
                                        ;     Child Loop BB19_11 Depth 2
	s_andn2_b64 vcc, exec, s[0:1]
	s_mov_b64 s[12:13], -1
                                        ; implicit-def: $vgpr6
                                        ; implicit-def: $vgpr4
	s_cbranch_vccnz .LBB19_14
; %bb.4:                                ;   in Loop: Header=BB19_3 Depth=1
	v_mov_b32_e32 v6, 0
	s_andn2_b64 vcc, exec, s[54:55]
	v_mov_b32_e32 v4, 0
	v_mov_b32_e32 v0, 0
	s_cbranch_vccnz .LBB19_13
; %bb.5:                                ;   in Loop: Header=BB19_3 Depth=1
	s_andn2_b64 vcc, exec, s[2:3]
	s_cbranch_vccnz .LBB19_9
; %bb.6:                                ;   in Loop: Header=BB19_3 Depth=1
	v_mov_b32_e32 v8, 0
	s_mov_b32 s42, 0
	s_mov_b64 s[76:77], s[56:57]
	v_mov_b32_e32 v0, v2
	v_mov_b32_e32 v4, 0
	;; [unrolled: 1-line block ×3, first 2 shown]
.LBB19_7:                               ;   Parent Loop BB19_3 Depth=1
                                        ; =>  This Inner Loop Header: Depth=2
	s_load_dwordx8 s[12:19], s[76:77], 0x0
	s_load_dwordx4 s[44:47], s[76:77], 0x20
	s_load_dwordx4 s[48:51], s[76:77], 0xe0
	s_load_dwordx8 s[20:27], s[76:77], 0xc0
	s_add_i32 s42, s42, 4
	s_waitcnt lgkmcnt(0)
	v_mul_hi_u32 v5, s13, v0
	v_add_u32_e32 v5, v0, v5
	v_lshrrev_b32_e32 v5, s14, v5
	v_mul_lo_u32 v7, v5, s12
	v_mul_hi_u32 v9, s16, v5
	v_sub_u32_e32 v0, v0, v7
	v_add_u32_e32 v7, v5, v9
	v_lshrrev_b32_e32 v7, s17, v7
	v_mul_lo_u32 v11, v7, s15
	v_mul_hi_u32 v12, s19, v7
	v_sub_u32_e32 v5, v5, v11
	v_add_u32_e32 v11, v7, v12
	v_mul_lo_u32 v9, v0, s20
	v_mul_lo_u32 v10, v0, s22
	;; [unrolled: 1-line block ×6, first 2 shown]
	v_lshrrev_b32_e32 v11, s44, v11
	v_add3_u32 v4, v0, v4, v5
	v_add3_u32 v5, v10, v6, v13
	v_mul_lo_u32 v0, v11, s18
	v_mul_hi_u32 v6, s46, v11
	v_sub_u32_e32 v0, v7, v0
	v_add_u32_e32 v6, v11, v6
	v_add3_u32 v8, v9, v8, v12
	v_mul_lo_u32 v7, v0, s26
	v_mul_lo_u32 v9, v0, s27
	;; [unrolled: 1-line block ×3, first 2 shown]
	v_lshrrev_b32_e32 v0, s47, v6
	v_mul_lo_u32 v6, v0, s45
	s_add_u32 s76, s76, 48
	v_sub_u32_e32 v6, v11, v6
	s_addc_u32 s77, s77, 0
	v_mul_lo_u32 v11, v6, s49
	v_mul_lo_u32 v12, v6, s50
	;; [unrolled: 1-line block ×3, first 2 shown]
	s_cmp_lg_u32 s41, s42
	v_add3_u32 v8, v7, v8, v11
	v_add3_u32 v6, v10, v5, v6
	;; [unrolled: 1-line block ×3, first 2 shown]
	s_cbranch_scc1 .LBB19_7
; %bb.8:                                ;   in Loop: Header=BB19_3 Depth=1
	v_mov_b32_e32 v5, v6
	s_mov_b32 s12, s41
	s_andn2_b64 vcc, exec, s[68:69]
	s_cbranch_vccz .LBB19_10
	s_branch .LBB19_12
.LBB19_9:                               ;   in Loop: Header=BB19_3 Depth=1
	v_mov_b32_e32 v0, v1
	s_mov_b32 s12, 0
	v_mov_b32_e32 v8, 0
                                        ; implicit-def: $vgpr6
	v_mov_b64_e32 v[4:5], v[0:1]
	v_mov_b32_e32 v0, v2
	s_andn2_b64 vcc, exec, s[68:69]
	s_cbranch_vccnz .LBB19_12
.LBB19_10:                              ;   in Loop: Header=BB19_3 Depth=1
	s_mul_i32 s12, s12, 12
	s_add_u32 s12, s56, s12
	s_addc_u32 s13, s57, 0
	s_mov_b32 s14, s9
.LBB19_11:                              ;   Parent Loop BB19_3 Depth=1
                                        ; =>  This Inner Loop Header: Depth=2
	s_load_dwordx2 s[16:17], s[12:13], 0x0
	s_load_dword s15, s[12:13], 0x8
	s_load_dwordx2 s[18:19], s[12:13], 0xc0
	s_load_dword s20, s[12:13], 0xc8
	v_mov_b32_e32 v6, v5
	s_waitcnt lgkmcnt(0)
	v_mul_hi_u32 v5, s17, v0
	v_add_u32_e32 v5, v0, v5
	v_lshrrev_b32_e32 v5, s15, v5
	v_mul_lo_u32 v7, v5, s16
	s_add_u32 s12, s12, 12
	v_sub_u32_e32 v10, v0, v7
	s_addc_u32 s13, s13, 0
	s_add_i32 s14, s14, -1
	v_mov_b32_e32 v0, v5
	v_mad_u64_u32 v[6:7], s[16:17], v10, s20, v[6:7]
	v_mad_u64_u32 v[4:5], s[16:17], v10, s19, v[4:5]
	s_cmp_lg_u32 s14, 0
	v_mad_u64_u32 v[8:9], s[16:17], v10, s18, v[8:9]
	v_mov_b32_e32 v5, v6
	s_cbranch_scc1 .LBB19_11
.LBB19_12:                              ;   in Loop: Header=BB19_3 Depth=1
	v_mov_b32_e32 v0, v8
.LBB19_13:                              ;   in Loop: Header=BB19_3 Depth=1
	s_mov_b64 s[12:13], 0
.LBB19_14:                              ;   in Loop: Header=BB19_3 Depth=1
	s_andn2_b64 vcc, exec, s[12:13]
	s_cbranch_vccnz .LBB19_2
; %bb.15:                               ;   in Loop: Header=BB19_3 Depth=1
	v_mul_lo_u32 v0, v3, s6
	v_mul_hi_u32 v4, v2, s6
	v_add3_u32 v0, v4, v0, v2
	v_lshrrev_b32_e32 v5, s7, v0
	v_mul_lo_u32 v0, v5, s5
	v_sub_u32_e32 v4, v2, v0
	v_mul_lo_u32 v0, v4, s40
	v_mul_lo_u32 v6, v4, s33
	s_andn2_b64 vcc, exec, s[62:63]
	v_mul_lo_u32 v4, v4, s11
	s_cbranch_vccnz .LBB19_2
; %bb.16:                               ;   in Loop: Header=BB19_3 Depth=1
	v_mul_hi_u32 v7, s4, v5
	v_add_u32_e32 v7, v5, v7
	v_lshrrev_b32_e32 v7, s10, v7
	v_mul_lo_u32 v7, v7, s8
	v_sub_u32_e32 v7, v5, v7
	v_mad_u64_u32 v[8:9], s[12:13], v7, s43, v[0:1]
	v_mad_u64_u32 v[4:5], s[12:13], v7, s60, v[4:5]
	;; [unrolled: 1-line block ×3, first 2 shown]
	v_mov_b32_e32 v0, v8
	s_branch .LBB19_2
.LBB19_17:
	s_endpgm
	.section	.rodata,"a",@progbits
	.p2align	6, 0x0
	.amdhsa_kernel _ZN2at6native12cross_kernelIN3c104HalfE16OffsetCalculatorILi3EjLb0EEiEEviPT_PKS6_S9_T0_T1_SB_SB_
		.amdhsa_group_segment_fixed_size 0
		.amdhsa_private_segment_fixed_size 0
		.amdhsa_kernarg_size 688
		.amdhsa_user_sgpr_count 2
		.amdhsa_user_sgpr_dispatch_ptr 0
		.amdhsa_user_sgpr_queue_ptr 0
		.amdhsa_user_sgpr_kernarg_segment_ptr 1
		.amdhsa_user_sgpr_dispatch_id 0
		.amdhsa_user_sgpr_kernarg_preload_length 0
		.amdhsa_user_sgpr_kernarg_preload_offset 0
		.amdhsa_user_sgpr_private_segment_size 0
		.amdhsa_uses_dynamic_stack 0
		.amdhsa_enable_private_segment 0
		.amdhsa_system_sgpr_workgroup_id_x 1
		.amdhsa_system_sgpr_workgroup_id_y 0
		.amdhsa_system_sgpr_workgroup_id_z 0
		.amdhsa_system_sgpr_workgroup_info 0
		.amdhsa_system_vgpr_workitem_id 0
		.amdhsa_next_free_vgpr 18
		.amdhsa_next_free_sgpr 78
		.amdhsa_accum_offset 20
		.amdhsa_reserve_vcc 1
		.amdhsa_float_round_mode_32 0
		.amdhsa_float_round_mode_16_64 0
		.amdhsa_float_denorm_mode_32 3
		.amdhsa_float_denorm_mode_16_64 3
		.amdhsa_dx10_clamp 1
		.amdhsa_ieee_mode 1
		.amdhsa_fp16_overflow 0
		.amdhsa_tg_split 0
		.amdhsa_exception_fp_ieee_invalid_op 0
		.amdhsa_exception_fp_denorm_src 0
		.amdhsa_exception_fp_ieee_div_zero 0
		.amdhsa_exception_fp_ieee_overflow 0
		.amdhsa_exception_fp_ieee_underflow 0
		.amdhsa_exception_fp_ieee_inexact 0
		.amdhsa_exception_int_div_zero 0
	.end_amdhsa_kernel
	.section	.text._ZN2at6native12cross_kernelIN3c104HalfE16OffsetCalculatorILi3EjLb0EEiEEviPT_PKS6_S9_T0_T1_SB_SB_,"axG",@progbits,_ZN2at6native12cross_kernelIN3c104HalfE16OffsetCalculatorILi3EjLb0EEiEEviPT_PKS6_S9_T0_T1_SB_SB_,comdat
.Lfunc_end19:
	.size	_ZN2at6native12cross_kernelIN3c104HalfE16OffsetCalculatorILi3EjLb0EEiEEviPT_PKS6_S9_T0_T1_SB_SB_, .Lfunc_end19-_ZN2at6native12cross_kernelIN3c104HalfE16OffsetCalculatorILi3EjLb0EEiEEviPT_PKS6_S9_T0_T1_SB_SB_
                                        ; -- End function
	.set _ZN2at6native12cross_kernelIN3c104HalfE16OffsetCalculatorILi3EjLb0EEiEEviPT_PKS6_S9_T0_T1_SB_SB_.num_vgpr, 18
	.set _ZN2at6native12cross_kernelIN3c104HalfE16OffsetCalculatorILi3EjLb0EEiEEviPT_PKS6_S9_T0_T1_SB_SB_.num_agpr, 0
	.set _ZN2at6native12cross_kernelIN3c104HalfE16OffsetCalculatorILi3EjLb0EEiEEviPT_PKS6_S9_T0_T1_SB_SB_.numbered_sgpr, 78
	.set _ZN2at6native12cross_kernelIN3c104HalfE16OffsetCalculatorILi3EjLb0EEiEEviPT_PKS6_S9_T0_T1_SB_SB_.num_named_barrier, 0
	.set _ZN2at6native12cross_kernelIN3c104HalfE16OffsetCalculatorILi3EjLb0EEiEEviPT_PKS6_S9_T0_T1_SB_SB_.private_seg_size, 0
	.set _ZN2at6native12cross_kernelIN3c104HalfE16OffsetCalculatorILi3EjLb0EEiEEviPT_PKS6_S9_T0_T1_SB_SB_.uses_vcc, 1
	.set _ZN2at6native12cross_kernelIN3c104HalfE16OffsetCalculatorILi3EjLb0EEiEEviPT_PKS6_S9_T0_T1_SB_SB_.uses_flat_scratch, 0
	.set _ZN2at6native12cross_kernelIN3c104HalfE16OffsetCalculatorILi3EjLb0EEiEEviPT_PKS6_S9_T0_T1_SB_SB_.has_dyn_sized_stack, 0
	.set _ZN2at6native12cross_kernelIN3c104HalfE16OffsetCalculatorILi3EjLb0EEiEEviPT_PKS6_S9_T0_T1_SB_SB_.has_recursion, 0
	.set _ZN2at6native12cross_kernelIN3c104HalfE16OffsetCalculatorILi3EjLb0EEiEEviPT_PKS6_S9_T0_T1_SB_SB_.has_indirect_call, 0
	.section	.AMDGPU.csdata,"",@progbits
; Kernel info:
; codeLenInByte = 1220
; TotalNumSgprs: 84
; NumVgprs: 18
; NumAgprs: 0
; TotalNumVgprs: 18
; ScratchSize: 0
; MemoryBound: 0
; FloatMode: 240
; IeeeMode: 1
; LDSByteSize: 0 bytes/workgroup (compile time only)
; SGPRBlocks: 10
; VGPRBlocks: 2
; NumSGPRsForWavesPerEU: 84
; NumVGPRsForWavesPerEU: 18
; AccumOffset: 20
; Occupancy: 8
; WaveLimiterHint : 1
; COMPUTE_PGM_RSRC2:SCRATCH_EN: 0
; COMPUTE_PGM_RSRC2:USER_SGPR: 2
; COMPUTE_PGM_RSRC2:TRAP_HANDLER: 0
; COMPUTE_PGM_RSRC2:TGID_X_EN: 1
; COMPUTE_PGM_RSRC2:TGID_Y_EN: 0
; COMPUTE_PGM_RSRC2:TGID_Z_EN: 0
; COMPUTE_PGM_RSRC2:TIDIG_COMP_CNT: 0
; COMPUTE_PGM_RSRC3_GFX90A:ACCUM_OFFSET: 4
; COMPUTE_PGM_RSRC3_GFX90A:TG_SPLIT: 0
	.section	.text._ZN2at6native12cross_kernelIN3c108BFloat16E16OffsetCalculatorILi3EjLb0EElEEviPT_PKS6_S9_T0_T1_SB_SB_,"axG",@progbits,_ZN2at6native12cross_kernelIN3c108BFloat16E16OffsetCalculatorILi3EjLb0EElEEviPT_PKS6_S9_T0_T1_SB_SB_,comdat
	.protected	_ZN2at6native12cross_kernelIN3c108BFloat16E16OffsetCalculatorILi3EjLb0EElEEviPT_PKS6_S9_T0_T1_SB_SB_ ; -- Begin function _ZN2at6native12cross_kernelIN3c108BFloat16E16OffsetCalculatorILi3EjLb0EElEEviPT_PKS6_S9_T0_T1_SB_SB_
	.globl	_ZN2at6native12cross_kernelIN3c108BFloat16E16OffsetCalculatorILi3EjLb0EElEEviPT_PKS6_S9_T0_T1_SB_SB_
	.p2align	8
	.type	_ZN2at6native12cross_kernelIN3c108BFloat16E16OffsetCalculatorILi3EjLb0EElEEviPT_PKS6_S9_T0_T1_SB_SB_,@function
_ZN2at6native12cross_kernelIN3c108BFloat16E16OffsetCalculatorILi3EjLb0EElEEviPT_PKS6_S9_T0_T1_SB_SB_: ; @_ZN2at6native12cross_kernelIN3c108BFloat16E16OffsetCalculatorILi3EjLb0EElEEviPT_PKS6_S9_T0_T1_SB_SB_
; %bb.0:
	s_load_dword s34, s[0:1], 0x0
	s_load_dword s3, s[0:1], 0x1cc
	v_mov_b32_e32 v1, 0
	v_mov_b32_e32 v2, s2
	s_waitcnt lgkmcnt(0)
	s_ashr_i32 s35, s34, 31
	s_add_u32 s12, s0, 0x1c0
	s_addc_u32 s13, s1, 0
	s_and_b32 s3, s3, 0xffff
	v_mad_u64_u32 v[2:3], s[4:5], s3, v2, v[0:1]
	v_cmp_gt_i64_e32 vcc, s[34:35], v[2:3]
	s_and_saveexec_b64 s[4:5], vcc
	s_cbranch_execz .LBB20_17
; %bb.1:
	s_load_dwordx4 s[28:31], s[0:1], 0x8
	s_load_dwordx2 s[52:53], s[0:1], 0x18
	s_load_dwordx8 s[4:11], s[0:1], 0x20
	s_load_dwordx2 s[14:15], s[0:1], 0x1b8
	s_load_dwordx4 s[36:39], s[0:1], 0x1a8
	s_load_dword s2, s[12:13], 0x0
	s_load_dwordx4 s[40:43], s[0:1], 0xe4
	s_load_dwordx2 s[60:61], s[0:1], 0xf4
	s_waitcnt lgkmcnt(0)
	v_sub_co_u32_e64 v0, s[12:13], s4, 1
	s_xor_b64 s[54:55], s[12:13], -1
	s_add_u32 s56, s0, 36
	v_readfirstlane_b32 s11, v0
	s_addc_u32 s57, s1, 0
	s_min_u32 s12, s11, 15
	s_cmp_gt_u32 s4, 1
	s_cselect_b64 s[62:63], -1, 0
	s_add_i32 s12, s12, 1
	s_mov_b32 s11, s41
	s_mov_b32 s4, s9
	s_lshl_b64 s[64:65], s[14:15], 2
	s_and_b32 s9, s12, 3
	s_and_b32 s41, s12, 28
	s_cmp_lg_u32 s9, 0
	s_cselect_b64 s[66:67], -1, 0
	s_lshl_b64 s[68:69], s[38:39], 1
	s_lshl_b64 s[0:1], s[14:15], 1
	s_sub_u32 s72, 0, s0
	s_mov_b32 s59, 0
	s_mov_b32 s33, s42
	s_mul_i32 s58, s2, s3
	s_mov_b64 s[70:71], 0
	s_subb_u32 s73, 0, s1
	s_lshl_b64 s[74:75], s[36:37], 1
	v_cmp_lt_u32_e64 s[0:1], 1, v0
	v_cmp_ne_u32_e64 s[2:3], 2, v0
	s_movk_i32 s42, 0x7fff
	v_mov_b32_e32 v10, 1
	v_mov_b32_e32 v11, 0x7fc00000
	;; [unrolled: 1-line block ×3, first 2 shown]
	s_branch .LBB20_3
.LBB20_2:                               ;   in Loop: Header=BB20_3 Depth=1
	v_mov_b32_e32 v7, v1
	v_mov_b32_e32 v5, v1
	v_lshl_add_u64 v[6:7], v[6:7], 1, s[52:53]
	v_lshl_add_u64 v[4:5], v[4:5], 1, s[30:31]
	;; [unrolled: 1-line block ×6, first 2 shown]
	global_load_ushort v13, v[6:7], off
	global_load_ushort v20, v[4:5], off
	;; [unrolled: 1-line block ×4, first 2 shown]
	s_nop 0
	global_load_ushort v19, v[18:19], off
	s_nop 0
	global_load_ushort v23, v[16:17], off
	v_lshl_add_u64 v[4:5], v[0:1], 1, s[28:29]
	v_lshl_add_u64 v[2:3], v[2:3], 0, s[58:59]
	v_cmp_le_i64_e32 vcc, s[34:35], v[2:3]
	s_or_b64 s[70:71], vcc, s[70:71]
	v_lshl_add_u64 v[6:7], s[36:37], 1, v[4:5]
	v_lshl_add_u64 v[8:9], v[6:7], 0, s[74:75]
	s_waitcnt vmcnt(5)
	v_lshlrev_b32_e32 v15, 16, v13
	s_waitcnt vmcnt(4)
	v_lshlrev_b32_e32 v14, 16, v20
	s_waitcnt vmcnt(3)
	v_lshlrev_b32_e32 v17, 16, v21
	s_waitcnt vmcnt(2)
	v_lshlrev_b32_e32 v18, 16, v22
	s_waitcnt vmcnt(1)
	v_lshlrev_b32_e32 v16, 16, v19
	s_waitcnt vmcnt(0)
	v_lshlrev_b32_e32 v19, 16, v23
	v_pk_mul_f32 v[20:21], v[16:17], v[18:19] op_sel:[1,0] op_sel_hi:[0,1]
	v_and_b32_sdwa v0, v21, v10 dst_sel:DWORD dst_unused:UNUSED_PAD src0_sel:WORD_1 src1_sel:DWORD
	v_pk_mul_f32 v[18:19], v[18:19], v[14:15]
	v_and_b32_sdwa v13, v20, v10 dst_sel:DWORD dst_unused:UNUSED_PAD src0_sel:WORD_1 src1_sel:DWORD
	v_add3_u32 v0, v21, v0, s42
	v_pk_mul_f32 v[14:15], v[16:17], v[14:15]
	v_and_b32_sdwa v17, v18, v10 dst_sel:DWORD dst_unused:UNUSED_PAD src0_sel:WORD_1 src1_sel:DWORD
	v_add3_u32 v13, v20, v13, s42
	v_and_b32_e32 v0, 0xffff0000, v0
	v_cmp_o_f32_e32 vcc, v21, v21
	v_and_b32_sdwa v16, v19, v10 dst_sel:DWORD dst_unused:UNUSED_PAD src0_sel:WORD_1 src1_sel:DWORD
	v_add3_u32 v17, v18, v17, s42
	v_and_b32_e32 v13, 0xffff0000, v13
	v_cndmask_b32_e32 v0, v11, v0, vcc
	v_cmp_o_f32_e32 vcc, v20, v20
	v_and_b32_sdwa v22, v15, v10 dst_sel:DWORD dst_unused:UNUSED_PAD src0_sel:WORD_1 src1_sel:DWORD
	v_add3_u32 v16, v19, v16, s42
	v_and_b32_e32 v17, 0xffff0000, v17
	v_cndmask_b32_e32 v13, v11, v13, vcc
	v_cmp_o_f32_e32 vcc, v18, v18
	v_and_b32_sdwa v23, v14, v10 dst_sel:DWORD dst_unused:UNUSED_PAD src0_sel:WORD_1 src1_sel:DWORD
	v_add3_u32 v22, v15, v22, s42
	v_and_b32_e32 v16, 0xffff0000, v16
	v_cndmask_b32_e32 v17, v11, v17, vcc
	v_cmp_o_f32_e32 vcc, v19, v19
	v_add3_u32 v23, v14, v23, s42
	v_and_b32_e32 v22, 0xffff0000, v22
	v_cndmask_b32_e32 v16, v11, v16, vcc
	v_cmp_o_f32_e32 vcc, v15, v15
	v_and_b32_e32 v23, 0xffff0000, v23
	v_sub_f32_e32 v0, v13, v0
	v_cndmask_b32_e32 v15, v11, v22, vcc
	v_cmp_o_f32_e32 vcc, v14, v14
	v_sub_f32_e32 v13, v16, v17
	v_bfe_u32 v16, v13, 16, 1
	v_cndmask_b32_e32 v14, v11, v23, vcc
	v_sub_f32_e32 v14, v14, v15
	v_bfe_u32 v15, v0, 16, 1
	v_add3_u32 v15, v0, v15, s42
	v_bfe_u32 v17, v14, 16, 1
	v_add3_u32 v16, v13, v16, s42
	v_lshrrev_b32_e32 v15, 16, v15
	v_cmp_o_f32_e32 vcc, v0, v0
	v_add3_u32 v17, v14, v17, s42
	v_lshrrev_b32_e32 v16, 16, v16
	v_cndmask_b32_e32 v0, v12, v15, vcc
	v_cmp_o_f32_e32 vcc, v13, v13
	v_lshrrev_b32_e32 v17, 16, v17
	s_nop 0
	v_cndmask_b32_e32 v13, v12, v16, vcc
	v_cmp_o_f32_e32 vcc, v14, v14
	s_nop 1
	v_cndmask_b32_e32 v14, v12, v17, vcc
	global_store_short v[4:5], v0, off
	global_store_short v[6:7], v13, off
	;; [unrolled: 1-line block ×3, first 2 shown]
	s_andn2_b64 exec, exec, s[70:71]
	s_cbranch_execz .LBB20_17
.LBB20_3:                               ; =>This Loop Header: Depth=1
                                        ;     Child Loop BB20_7 Depth 2
                                        ;     Child Loop BB20_11 Depth 2
	s_andn2_b64 vcc, exec, s[0:1]
	s_mov_b64 s[12:13], -1
                                        ; implicit-def: $vgpr6
                                        ; implicit-def: $vgpr4
	s_cbranch_vccnz .LBB20_14
; %bb.4:                                ;   in Loop: Header=BB20_3 Depth=1
	v_mov_b32_e32 v6, 0
	s_andn2_b64 vcc, exec, s[54:55]
	v_mov_b32_e32 v4, 0
	v_mov_b32_e32 v0, 0
	s_cbranch_vccnz .LBB20_13
; %bb.5:                                ;   in Loop: Header=BB20_3 Depth=1
	s_andn2_b64 vcc, exec, s[2:3]
	s_cbranch_vccnz .LBB20_9
; %bb.6:                                ;   in Loop: Header=BB20_3 Depth=1
	v_mov_b32_e32 v8, 0
	s_mov_b32 s78, 0
	s_mov_b64 s[76:77], s[56:57]
	v_mov_b32_e32 v0, v2
	v_mov_b32_e32 v4, 0
	;; [unrolled: 1-line block ×3, first 2 shown]
.LBB20_7:                               ;   Parent Loop BB20_3 Depth=1
                                        ; =>  This Inner Loop Header: Depth=2
	s_load_dwordx8 s[12:19], s[76:77], 0x0
	s_load_dwordx4 s[44:47], s[76:77], 0x20
	s_load_dwordx4 s[48:51], s[76:77], 0xe0
	s_load_dwordx8 s[20:27], s[76:77], 0xc0
	s_add_i32 s78, s78, 4
	s_waitcnt lgkmcnt(0)
	v_mul_hi_u32 v5, s13, v0
	v_add_u32_e32 v5, v0, v5
	v_lshrrev_b32_e32 v5, s14, v5
	v_mul_lo_u32 v7, v5, s12
	v_mul_hi_u32 v9, s16, v5
	v_sub_u32_e32 v0, v0, v7
	v_add_u32_e32 v7, v5, v9
	v_lshrrev_b32_e32 v7, s17, v7
	v_mul_lo_u32 v14, v7, s15
	v_mul_hi_u32 v15, s19, v7
	v_sub_u32_e32 v5, v5, v14
	v_add_u32_e32 v14, v7, v15
	v_mul_lo_u32 v9, v0, s20
	v_mul_lo_u32 v13, v0, s22
	;; [unrolled: 1-line block ×6, first 2 shown]
	v_lshrrev_b32_e32 v14, s44, v14
	v_add3_u32 v4, v0, v4, v5
	v_add3_u32 v5, v13, v6, v16
	v_mul_lo_u32 v0, v14, s18
	v_mul_hi_u32 v6, s46, v14
	v_sub_u32_e32 v0, v7, v0
	v_add_u32_e32 v6, v14, v6
	v_add3_u32 v8, v9, v8, v15
	v_mul_lo_u32 v7, v0, s26
	v_mul_lo_u32 v9, v0, s27
	v_mul_lo_u32 v13, v0, s48
	v_lshrrev_b32_e32 v0, s47, v6
	v_mul_lo_u32 v6, v0, s45
	s_add_u32 s76, s76, 48
	v_sub_u32_e32 v6, v14, v6
	s_addc_u32 s77, s77, 0
	v_mul_lo_u32 v14, v6, s49
	v_mul_lo_u32 v15, v6, s50
	;; [unrolled: 1-line block ×3, first 2 shown]
	s_cmp_lg_u32 s41, s78
	v_add3_u32 v8, v7, v8, v14
	v_add3_u32 v6, v13, v5, v6
	;; [unrolled: 1-line block ×3, first 2 shown]
	s_cbranch_scc1 .LBB20_7
; %bb.8:                                ;   in Loop: Header=BB20_3 Depth=1
	v_mov_b32_e32 v5, v6
	s_mov_b32 s12, s41
	s_andn2_b64 vcc, exec, s[66:67]
	s_cbranch_vccz .LBB20_10
	s_branch .LBB20_12
.LBB20_9:                               ;   in Loop: Header=BB20_3 Depth=1
	v_mov_b32_e32 v0, v1
	s_mov_b32 s12, 0
	v_mov_b32_e32 v8, 0
                                        ; implicit-def: $vgpr6
	v_mov_b64_e32 v[4:5], v[0:1]
	v_mov_b32_e32 v0, v2
	s_andn2_b64 vcc, exec, s[66:67]
	s_cbranch_vccnz .LBB20_12
.LBB20_10:                              ;   in Loop: Header=BB20_3 Depth=1
	s_mul_i32 s12, s12, 12
	s_add_u32 s12, s56, s12
	s_addc_u32 s13, s57, 0
	s_mov_b32 s14, s9
.LBB20_11:                              ;   Parent Loop BB20_3 Depth=1
                                        ; =>  This Inner Loop Header: Depth=2
	s_load_dwordx2 s[16:17], s[12:13], 0x0
	s_load_dword s15, s[12:13], 0x8
	s_load_dwordx2 s[18:19], s[12:13], 0xc0
	s_load_dword s20, s[12:13], 0xc8
	v_mov_b32_e32 v6, v5
	s_waitcnt lgkmcnt(0)
	v_mul_hi_u32 v5, s17, v0
	v_add_u32_e32 v5, v0, v5
	v_lshrrev_b32_e32 v5, s15, v5
	v_mul_lo_u32 v7, v5, s16
	s_add_u32 s12, s12, 12
	v_sub_u32_e32 v13, v0, v7
	s_addc_u32 s13, s13, 0
	s_add_i32 s14, s14, -1
	v_mov_b32_e32 v0, v5
	v_mad_u64_u32 v[6:7], s[16:17], v13, s20, v[6:7]
	v_mad_u64_u32 v[4:5], s[16:17], v13, s19, v[4:5]
	s_cmp_lg_u32 s14, 0
	v_mad_u64_u32 v[8:9], s[16:17], v13, s18, v[8:9]
	v_mov_b32_e32 v5, v6
	s_cbranch_scc1 .LBB20_11
.LBB20_12:                              ;   in Loop: Header=BB20_3 Depth=1
	v_mov_b32_e32 v0, v8
.LBB20_13:                              ;   in Loop: Header=BB20_3 Depth=1
	s_mov_b64 s[12:13], 0
.LBB20_14:                              ;   in Loop: Header=BB20_3 Depth=1
	s_andn2_b64 vcc, exec, s[12:13]
	s_cbranch_vccnz .LBB20_2
; %bb.15:                               ;   in Loop: Header=BB20_3 Depth=1
	v_mul_lo_u32 v0, v3, s6
	v_mul_hi_u32 v4, v2, s6
	v_add3_u32 v0, v4, v0, v2
	v_lshrrev_b32_e32 v5, s7, v0
	v_mul_lo_u32 v0, v5, s5
	v_sub_u32_e32 v4, v2, v0
	v_mul_lo_u32 v0, v4, s40
	v_mul_lo_u32 v6, v4, s33
	s_andn2_b64 vcc, exec, s[62:63]
	v_mul_lo_u32 v4, v4, s11
	s_cbranch_vccnz .LBB20_2
; %bb.16:                               ;   in Loop: Header=BB20_3 Depth=1
	v_mul_hi_u32 v7, s4, v5
	v_add_u32_e32 v7, v5, v7
	v_lshrrev_b32_e32 v7, s10, v7
	v_mul_lo_u32 v7, v7, s8
	v_sub_u32_e32 v7, v5, v7
	v_mad_u64_u32 v[8:9], s[12:13], v7, s43, v[0:1]
	v_mad_u64_u32 v[4:5], s[12:13], v7, s60, v[4:5]
	;; [unrolled: 1-line block ×3, first 2 shown]
	v_mov_b32_e32 v0, v8
	s_branch .LBB20_2
.LBB20_17:
	s_endpgm
	.section	.rodata,"a",@progbits
	.p2align	6, 0x0
	.amdhsa_kernel _ZN2at6native12cross_kernelIN3c108BFloat16E16OffsetCalculatorILi3EjLb0EElEEviPT_PKS6_S9_T0_T1_SB_SB_
		.amdhsa_group_segment_fixed_size 0
		.amdhsa_private_segment_fixed_size 0
		.amdhsa_kernarg_size 704
		.amdhsa_user_sgpr_count 2
		.amdhsa_user_sgpr_dispatch_ptr 0
		.amdhsa_user_sgpr_queue_ptr 0
		.amdhsa_user_sgpr_kernarg_segment_ptr 1
		.amdhsa_user_sgpr_dispatch_id 0
		.amdhsa_user_sgpr_kernarg_preload_length 0
		.amdhsa_user_sgpr_kernarg_preload_offset 0
		.amdhsa_user_sgpr_private_segment_size 0
		.amdhsa_uses_dynamic_stack 0
		.amdhsa_enable_private_segment 0
		.amdhsa_system_sgpr_workgroup_id_x 1
		.amdhsa_system_sgpr_workgroup_id_y 0
		.amdhsa_system_sgpr_workgroup_id_z 0
		.amdhsa_system_sgpr_workgroup_info 0
		.amdhsa_system_vgpr_workitem_id 0
		.amdhsa_next_free_vgpr 24
		.amdhsa_next_free_sgpr 79
		.amdhsa_accum_offset 24
		.amdhsa_reserve_vcc 1
		.amdhsa_float_round_mode_32 0
		.amdhsa_float_round_mode_16_64 0
		.amdhsa_float_denorm_mode_32 3
		.amdhsa_float_denorm_mode_16_64 3
		.amdhsa_dx10_clamp 1
		.amdhsa_ieee_mode 1
		.amdhsa_fp16_overflow 0
		.amdhsa_tg_split 0
		.amdhsa_exception_fp_ieee_invalid_op 0
		.amdhsa_exception_fp_denorm_src 0
		.amdhsa_exception_fp_ieee_div_zero 0
		.amdhsa_exception_fp_ieee_overflow 0
		.amdhsa_exception_fp_ieee_underflow 0
		.amdhsa_exception_fp_ieee_inexact 0
		.amdhsa_exception_int_div_zero 0
	.end_amdhsa_kernel
	.section	.text._ZN2at6native12cross_kernelIN3c108BFloat16E16OffsetCalculatorILi3EjLb0EElEEviPT_PKS6_S9_T0_T1_SB_SB_,"axG",@progbits,_ZN2at6native12cross_kernelIN3c108BFloat16E16OffsetCalculatorILi3EjLb0EElEEviPT_PKS6_S9_T0_T1_SB_SB_,comdat
.Lfunc_end20:
	.size	_ZN2at6native12cross_kernelIN3c108BFloat16E16OffsetCalculatorILi3EjLb0EElEEviPT_PKS6_S9_T0_T1_SB_SB_, .Lfunc_end20-_ZN2at6native12cross_kernelIN3c108BFloat16E16OffsetCalculatorILi3EjLb0EElEEviPT_PKS6_S9_T0_T1_SB_SB_
                                        ; -- End function
	.set _ZN2at6native12cross_kernelIN3c108BFloat16E16OffsetCalculatorILi3EjLb0EElEEviPT_PKS6_S9_T0_T1_SB_SB_.num_vgpr, 24
	.set _ZN2at6native12cross_kernelIN3c108BFloat16E16OffsetCalculatorILi3EjLb0EElEEviPT_PKS6_S9_T0_T1_SB_SB_.num_agpr, 0
	.set _ZN2at6native12cross_kernelIN3c108BFloat16E16OffsetCalculatorILi3EjLb0EElEEviPT_PKS6_S9_T0_T1_SB_SB_.numbered_sgpr, 79
	.set _ZN2at6native12cross_kernelIN3c108BFloat16E16OffsetCalculatorILi3EjLb0EElEEviPT_PKS6_S9_T0_T1_SB_SB_.num_named_barrier, 0
	.set _ZN2at6native12cross_kernelIN3c108BFloat16E16OffsetCalculatorILi3EjLb0EElEEviPT_PKS6_S9_T0_T1_SB_SB_.private_seg_size, 0
	.set _ZN2at6native12cross_kernelIN3c108BFloat16E16OffsetCalculatorILi3EjLb0EElEEviPT_PKS6_S9_T0_T1_SB_SB_.uses_vcc, 1
	.set _ZN2at6native12cross_kernelIN3c108BFloat16E16OffsetCalculatorILi3EjLb0EElEEviPT_PKS6_S9_T0_T1_SB_SB_.uses_flat_scratch, 0
	.set _ZN2at6native12cross_kernelIN3c108BFloat16E16OffsetCalculatorILi3EjLb0EElEEviPT_PKS6_S9_T0_T1_SB_SB_.has_dyn_sized_stack, 0
	.set _ZN2at6native12cross_kernelIN3c108BFloat16E16OffsetCalculatorILi3EjLb0EElEEviPT_PKS6_S9_T0_T1_SB_SB_.has_recursion, 0
	.set _ZN2at6native12cross_kernelIN3c108BFloat16E16OffsetCalculatorILi3EjLb0EElEEviPT_PKS6_S9_T0_T1_SB_SB_.has_indirect_call, 0
	.section	.AMDGPU.csdata,"",@progbits
; Kernel info:
; codeLenInByte = 1552
; TotalNumSgprs: 85
; NumVgprs: 24
; NumAgprs: 0
; TotalNumVgprs: 24
; ScratchSize: 0
; MemoryBound: 0
; FloatMode: 240
; IeeeMode: 1
; LDSByteSize: 0 bytes/workgroup (compile time only)
; SGPRBlocks: 10
; VGPRBlocks: 2
; NumSGPRsForWavesPerEU: 85
; NumVGPRsForWavesPerEU: 24
; AccumOffset: 24
; Occupancy: 8
; WaveLimiterHint : 1
; COMPUTE_PGM_RSRC2:SCRATCH_EN: 0
; COMPUTE_PGM_RSRC2:USER_SGPR: 2
; COMPUTE_PGM_RSRC2:TRAP_HANDLER: 0
; COMPUTE_PGM_RSRC2:TGID_X_EN: 1
; COMPUTE_PGM_RSRC2:TGID_Y_EN: 0
; COMPUTE_PGM_RSRC2:TGID_Z_EN: 0
; COMPUTE_PGM_RSRC2:TIDIG_COMP_CNT: 0
; COMPUTE_PGM_RSRC3_GFX90A:ACCUM_OFFSET: 5
; COMPUTE_PGM_RSRC3_GFX90A:TG_SPLIT: 0
	.section	.text._ZN2at6native12cross_kernelIN3c108BFloat16E16OffsetCalculatorILi3EjLb0EEiEEviPT_PKS6_S9_T0_T1_SB_SB_,"axG",@progbits,_ZN2at6native12cross_kernelIN3c108BFloat16E16OffsetCalculatorILi3EjLb0EEiEEviPT_PKS6_S9_T0_T1_SB_SB_,comdat
	.protected	_ZN2at6native12cross_kernelIN3c108BFloat16E16OffsetCalculatorILi3EjLb0EEiEEviPT_PKS6_S9_T0_T1_SB_SB_ ; -- Begin function _ZN2at6native12cross_kernelIN3c108BFloat16E16OffsetCalculatorILi3EjLb0EEiEEviPT_PKS6_S9_T0_T1_SB_SB_
	.globl	_ZN2at6native12cross_kernelIN3c108BFloat16E16OffsetCalculatorILi3EjLb0EEiEEviPT_PKS6_S9_T0_T1_SB_SB_
	.p2align	8
	.type	_ZN2at6native12cross_kernelIN3c108BFloat16E16OffsetCalculatorILi3EjLb0EEiEEviPT_PKS6_S9_T0_T1_SB_SB_,@function
_ZN2at6native12cross_kernelIN3c108BFloat16E16OffsetCalculatorILi3EjLb0EEiEEviPT_PKS6_S9_T0_T1_SB_SB_: ; @_ZN2at6native12cross_kernelIN3c108BFloat16E16OffsetCalculatorILi3EjLb0EEiEEviPT_PKS6_S9_T0_T1_SB_SB_
; %bb.0:
	s_load_dword s34, s[0:1], 0x0
	s_load_dword s3, s[0:1], 0x1bc
	v_mov_b32_e32 v1, 0
	v_mov_b32_e32 v2, s2
	s_waitcnt lgkmcnt(0)
	s_ashr_i32 s35, s34, 31
	s_add_u32 s12, s0, 0x1b0
	s_addc_u32 s13, s1, 0
	s_and_b32 s3, s3, 0xffff
	v_mad_u64_u32 v[2:3], s[4:5], s3, v2, v[0:1]
	v_cmp_gt_i64_e32 vcc, s[34:35], v[2:3]
	s_and_saveexec_b64 s[4:5], vcc
	s_cbranch_execz .LBB21_17
; %bb.1:
	s_load_dwordx8 s[4:11], s[0:1], 0x20
	s_load_dwordx4 s[28:31], s[0:1], 0x8
	s_load_dwordx2 s[52:53], s[0:1], 0x18
	s_load_dwordx4 s[36:39], s[0:1], 0x1a4
	s_load_dword s2, s[12:13], 0x0
	s_waitcnt lgkmcnt(0)
	v_sub_co_u32_e64 v0, s[12:13], s4, 1
	s_xor_b64 s[54:55], s[12:13], -1
	s_load_dwordx4 s[40:43], s[0:1], 0xe4
	s_load_dwordx2 s[60:61], s[0:1], 0xf4
	s_add_u32 s56, s0, 36
	v_readfirstlane_b32 s11, v0
	s_addc_u32 s57, s1, 0
	s_min_u32 s12, s11, 15
	s_cmp_gt_u32 s4, 1
	s_cselect_b64 s[62:63], -1, 0
	s_lshl_b32 s66, s38, 1
	s_add_i32 s12, s12, 1
	s_waitcnt lgkmcnt(0)
	s_mov_b32 s11, s41
	s_mov_b32 s4, s9
	s_ashr_i32 s65, s37, 31
	s_mov_b32 s64, s37
	s_ashr_i32 s67, s66, 31
	s_ashr_i32 s37, s36, 31
	s_and_b32 s9, s12, 3
	s_and_b32 s41, s12, 28
	s_cmp_lg_u32 s9, 0
	s_cselect_b64 s[68:69], -1, 0
	s_ashr_i32 s39, s38, 31
	s_lshl_b64 s[70:71], s[64:65], 1
	s_lshl_b64 s[0:1], s[38:39], 1
	s_sub_u32 s72, 0, s0
	s_mov_b32 s59, 0
	s_mov_b32 s33, s42
	s_mul_i32 s58, s2, s3
	s_mov_b64 s[38:39], 0
	s_subb_u32 s73, 0, s1
	s_lshl_b64 s[74:75], s[36:37], 1
	v_cmp_lt_u32_e64 s[0:1], 1, v0
	v_cmp_ne_u32_e64 s[2:3], 2, v0
	s_movk_i32 s42, 0x7fff
	v_mov_b32_e32 v10, 1
	v_mov_b32_e32 v11, 0x7fc00000
	;; [unrolled: 1-line block ×3, first 2 shown]
	s_branch .LBB21_3
.LBB21_2:                               ;   in Loop: Header=BB21_3 Depth=1
	v_mov_b32_e32 v7, v1
	v_mov_b32_e32 v5, v1
	v_lshl_add_u64 v[6:7], v[6:7], 1, s[52:53]
	v_lshl_add_u64 v[4:5], v[4:5], 1, s[30:31]
	;; [unrolled: 1-line block ×6, first 2 shown]
	global_load_ushort v13, v[6:7], off
	global_load_ushort v20, v[4:5], off
	;; [unrolled: 1-line block ×4, first 2 shown]
	s_nop 0
	global_load_ushort v19, v[18:19], off
	s_nop 0
	global_load_ushort v23, v[16:17], off
	v_lshl_add_u64 v[4:5], v[0:1], 1, s[28:29]
	v_lshl_add_u64 v[2:3], v[2:3], 0, s[58:59]
	v_cmp_le_i64_e32 vcc, s[34:35], v[2:3]
	s_or_b64 s[38:39], vcc, s[38:39]
	v_lshl_add_u64 v[6:7], s[36:37], 1, v[4:5]
	v_lshl_add_u64 v[8:9], v[6:7], 0, s[74:75]
	s_waitcnt vmcnt(5)
	v_lshlrev_b32_e32 v15, 16, v13
	s_waitcnt vmcnt(4)
	v_lshlrev_b32_e32 v14, 16, v20
	;; [unrolled: 2-line block ×6, first 2 shown]
	v_pk_mul_f32 v[20:21], v[16:17], v[18:19] op_sel:[1,0] op_sel_hi:[0,1]
	v_and_b32_sdwa v0, v21, v10 dst_sel:DWORD dst_unused:UNUSED_PAD src0_sel:WORD_1 src1_sel:DWORD
	v_pk_mul_f32 v[18:19], v[18:19], v[14:15]
	v_and_b32_sdwa v13, v20, v10 dst_sel:DWORD dst_unused:UNUSED_PAD src0_sel:WORD_1 src1_sel:DWORD
	v_add3_u32 v0, v21, v0, s42
	v_pk_mul_f32 v[14:15], v[16:17], v[14:15]
	v_and_b32_sdwa v17, v18, v10 dst_sel:DWORD dst_unused:UNUSED_PAD src0_sel:WORD_1 src1_sel:DWORD
	v_add3_u32 v13, v20, v13, s42
	v_and_b32_e32 v0, 0xffff0000, v0
	v_cmp_o_f32_e32 vcc, v21, v21
	v_and_b32_sdwa v16, v19, v10 dst_sel:DWORD dst_unused:UNUSED_PAD src0_sel:WORD_1 src1_sel:DWORD
	v_add3_u32 v17, v18, v17, s42
	v_and_b32_e32 v13, 0xffff0000, v13
	v_cndmask_b32_e32 v0, v11, v0, vcc
	v_cmp_o_f32_e32 vcc, v20, v20
	v_and_b32_sdwa v22, v15, v10 dst_sel:DWORD dst_unused:UNUSED_PAD src0_sel:WORD_1 src1_sel:DWORD
	v_add3_u32 v16, v19, v16, s42
	v_and_b32_e32 v17, 0xffff0000, v17
	v_cndmask_b32_e32 v13, v11, v13, vcc
	;; [unrolled: 5-line block ×3, first 2 shown]
	v_cmp_o_f32_e32 vcc, v19, v19
	v_add3_u32 v23, v14, v23, s42
	v_and_b32_e32 v22, 0xffff0000, v22
	v_cndmask_b32_e32 v16, v11, v16, vcc
	v_cmp_o_f32_e32 vcc, v15, v15
	v_and_b32_e32 v23, 0xffff0000, v23
	v_sub_f32_e32 v0, v13, v0
	v_cndmask_b32_e32 v15, v11, v22, vcc
	v_cmp_o_f32_e32 vcc, v14, v14
	v_sub_f32_e32 v13, v16, v17
	v_bfe_u32 v16, v13, 16, 1
	v_cndmask_b32_e32 v14, v11, v23, vcc
	v_sub_f32_e32 v14, v14, v15
	v_bfe_u32 v15, v0, 16, 1
	v_add3_u32 v15, v0, v15, s42
	v_bfe_u32 v17, v14, 16, 1
	v_add3_u32 v16, v13, v16, s42
	v_lshrrev_b32_e32 v15, 16, v15
	v_cmp_o_f32_e32 vcc, v0, v0
	v_add3_u32 v17, v14, v17, s42
	v_lshrrev_b32_e32 v16, 16, v16
	v_cndmask_b32_e32 v0, v12, v15, vcc
	v_cmp_o_f32_e32 vcc, v13, v13
	v_lshrrev_b32_e32 v17, 16, v17
	s_nop 0
	v_cndmask_b32_e32 v13, v12, v16, vcc
	v_cmp_o_f32_e32 vcc, v14, v14
	s_nop 1
	v_cndmask_b32_e32 v14, v12, v17, vcc
	global_store_short v[4:5], v0, off
	global_store_short v[6:7], v13, off
	;; [unrolled: 1-line block ×3, first 2 shown]
	s_andn2_b64 exec, exec, s[38:39]
	s_cbranch_execz .LBB21_17
.LBB21_3:                               ; =>This Loop Header: Depth=1
                                        ;     Child Loop BB21_7 Depth 2
                                        ;     Child Loop BB21_11 Depth 2
	s_andn2_b64 vcc, exec, s[0:1]
	s_mov_b64 s[12:13], -1
                                        ; implicit-def: $vgpr6
                                        ; implicit-def: $vgpr4
	s_cbranch_vccnz .LBB21_14
; %bb.4:                                ;   in Loop: Header=BB21_3 Depth=1
	v_mov_b32_e32 v6, 0
	s_andn2_b64 vcc, exec, s[54:55]
	v_mov_b32_e32 v4, 0
	v_mov_b32_e32 v0, 0
	s_cbranch_vccnz .LBB21_13
; %bb.5:                                ;   in Loop: Header=BB21_3 Depth=1
	s_andn2_b64 vcc, exec, s[2:3]
	s_cbranch_vccnz .LBB21_9
; %bb.6:                                ;   in Loop: Header=BB21_3 Depth=1
	v_mov_b32_e32 v8, 0
	s_mov_b32 s78, 0
	s_mov_b64 s[76:77], s[56:57]
	v_mov_b32_e32 v0, v2
	v_mov_b32_e32 v4, 0
	;; [unrolled: 1-line block ×3, first 2 shown]
.LBB21_7:                               ;   Parent Loop BB21_3 Depth=1
                                        ; =>  This Inner Loop Header: Depth=2
	s_load_dwordx8 s[12:19], s[76:77], 0x0
	s_load_dwordx4 s[44:47], s[76:77], 0x20
	s_load_dwordx4 s[48:51], s[76:77], 0xe0
	s_load_dwordx8 s[20:27], s[76:77], 0xc0
	s_add_i32 s78, s78, 4
	s_waitcnt lgkmcnt(0)
	v_mul_hi_u32 v5, s13, v0
	v_add_u32_e32 v5, v0, v5
	v_lshrrev_b32_e32 v5, s14, v5
	v_mul_lo_u32 v7, v5, s12
	v_mul_hi_u32 v9, s16, v5
	v_sub_u32_e32 v0, v0, v7
	v_add_u32_e32 v7, v5, v9
	v_lshrrev_b32_e32 v7, s17, v7
	v_mul_lo_u32 v14, v7, s15
	v_mul_hi_u32 v15, s19, v7
	v_sub_u32_e32 v5, v5, v14
	v_add_u32_e32 v14, v7, v15
	v_mul_lo_u32 v9, v0, s20
	v_mul_lo_u32 v13, v0, s22
	v_mul_lo_u32 v0, v0, s21
	v_mul_lo_u32 v15, v5, s23
	v_mul_lo_u32 v16, v5, s25
	v_mul_lo_u32 v5, v5, s24
	v_lshrrev_b32_e32 v14, s44, v14
	v_add3_u32 v4, v0, v4, v5
	v_add3_u32 v5, v13, v6, v16
	v_mul_lo_u32 v0, v14, s18
	v_mul_hi_u32 v6, s46, v14
	v_sub_u32_e32 v0, v7, v0
	v_add_u32_e32 v6, v14, v6
	v_add3_u32 v8, v9, v8, v15
	v_mul_lo_u32 v7, v0, s26
	v_mul_lo_u32 v9, v0, s27
	v_mul_lo_u32 v13, v0, s48
	v_lshrrev_b32_e32 v0, s47, v6
	v_mul_lo_u32 v6, v0, s45
	s_add_u32 s76, s76, 48
	v_sub_u32_e32 v6, v14, v6
	s_addc_u32 s77, s77, 0
	v_mul_lo_u32 v14, v6, s49
	v_mul_lo_u32 v15, v6, s50
	;; [unrolled: 1-line block ×3, first 2 shown]
	s_cmp_lg_u32 s41, s78
	v_add3_u32 v8, v7, v8, v14
	v_add3_u32 v6, v13, v5, v6
	;; [unrolled: 1-line block ×3, first 2 shown]
	s_cbranch_scc1 .LBB21_7
; %bb.8:                                ;   in Loop: Header=BB21_3 Depth=1
	v_mov_b32_e32 v5, v6
	s_mov_b32 s12, s41
	s_andn2_b64 vcc, exec, s[68:69]
	s_cbranch_vccz .LBB21_10
	s_branch .LBB21_12
.LBB21_9:                               ;   in Loop: Header=BB21_3 Depth=1
	v_mov_b32_e32 v0, v1
	s_mov_b32 s12, 0
	v_mov_b32_e32 v8, 0
                                        ; implicit-def: $vgpr6
	v_mov_b64_e32 v[4:5], v[0:1]
	v_mov_b32_e32 v0, v2
	s_andn2_b64 vcc, exec, s[68:69]
	s_cbranch_vccnz .LBB21_12
.LBB21_10:                              ;   in Loop: Header=BB21_3 Depth=1
	s_mul_i32 s12, s12, 12
	s_add_u32 s12, s56, s12
	s_addc_u32 s13, s57, 0
	s_mov_b32 s14, s9
.LBB21_11:                              ;   Parent Loop BB21_3 Depth=1
                                        ; =>  This Inner Loop Header: Depth=2
	s_load_dwordx2 s[16:17], s[12:13], 0x0
	s_load_dword s15, s[12:13], 0x8
	s_load_dwordx2 s[18:19], s[12:13], 0xc0
	s_load_dword s20, s[12:13], 0xc8
	v_mov_b32_e32 v6, v5
	s_waitcnt lgkmcnt(0)
	v_mul_hi_u32 v5, s17, v0
	v_add_u32_e32 v5, v0, v5
	v_lshrrev_b32_e32 v5, s15, v5
	v_mul_lo_u32 v7, v5, s16
	s_add_u32 s12, s12, 12
	v_sub_u32_e32 v13, v0, v7
	s_addc_u32 s13, s13, 0
	s_add_i32 s14, s14, -1
	v_mov_b32_e32 v0, v5
	v_mad_u64_u32 v[6:7], s[16:17], v13, s20, v[6:7]
	v_mad_u64_u32 v[4:5], s[16:17], v13, s19, v[4:5]
	s_cmp_lg_u32 s14, 0
	v_mad_u64_u32 v[8:9], s[16:17], v13, s18, v[8:9]
	v_mov_b32_e32 v5, v6
	s_cbranch_scc1 .LBB21_11
.LBB21_12:                              ;   in Loop: Header=BB21_3 Depth=1
	v_mov_b32_e32 v0, v8
.LBB21_13:                              ;   in Loop: Header=BB21_3 Depth=1
	s_mov_b64 s[12:13], 0
.LBB21_14:                              ;   in Loop: Header=BB21_3 Depth=1
	s_andn2_b64 vcc, exec, s[12:13]
	s_cbranch_vccnz .LBB21_2
; %bb.15:                               ;   in Loop: Header=BB21_3 Depth=1
	v_mul_lo_u32 v0, v3, s6
	v_mul_hi_u32 v4, v2, s6
	v_add3_u32 v0, v4, v0, v2
	v_lshrrev_b32_e32 v5, s7, v0
	v_mul_lo_u32 v0, v5, s5
	v_sub_u32_e32 v4, v2, v0
	v_mul_lo_u32 v0, v4, s40
	v_mul_lo_u32 v6, v4, s33
	s_andn2_b64 vcc, exec, s[62:63]
	v_mul_lo_u32 v4, v4, s11
	s_cbranch_vccnz .LBB21_2
; %bb.16:                               ;   in Loop: Header=BB21_3 Depth=1
	v_mul_hi_u32 v7, s4, v5
	v_add_u32_e32 v7, v5, v7
	v_lshrrev_b32_e32 v7, s10, v7
	v_mul_lo_u32 v7, v7, s8
	v_sub_u32_e32 v7, v5, v7
	v_mad_u64_u32 v[8:9], s[12:13], v7, s43, v[0:1]
	v_mad_u64_u32 v[4:5], s[12:13], v7, s60, v[4:5]
	;; [unrolled: 1-line block ×3, first 2 shown]
	v_mov_b32_e32 v0, v8
	s_branch .LBB21_2
.LBB21_17:
	s_endpgm
	.section	.rodata,"a",@progbits
	.p2align	6, 0x0
	.amdhsa_kernel _ZN2at6native12cross_kernelIN3c108BFloat16E16OffsetCalculatorILi3EjLb0EEiEEviPT_PKS6_S9_T0_T1_SB_SB_
		.amdhsa_group_segment_fixed_size 0
		.amdhsa_private_segment_fixed_size 0
		.amdhsa_kernarg_size 688
		.amdhsa_user_sgpr_count 2
		.amdhsa_user_sgpr_dispatch_ptr 0
		.amdhsa_user_sgpr_queue_ptr 0
		.amdhsa_user_sgpr_kernarg_segment_ptr 1
		.amdhsa_user_sgpr_dispatch_id 0
		.amdhsa_user_sgpr_kernarg_preload_length 0
		.amdhsa_user_sgpr_kernarg_preload_offset 0
		.amdhsa_user_sgpr_private_segment_size 0
		.amdhsa_uses_dynamic_stack 0
		.amdhsa_enable_private_segment 0
		.amdhsa_system_sgpr_workgroup_id_x 1
		.amdhsa_system_sgpr_workgroup_id_y 0
		.amdhsa_system_sgpr_workgroup_id_z 0
		.amdhsa_system_sgpr_workgroup_info 0
		.amdhsa_system_vgpr_workitem_id 0
		.amdhsa_next_free_vgpr 24
		.amdhsa_next_free_sgpr 79
		.amdhsa_accum_offset 24
		.amdhsa_reserve_vcc 1
		.amdhsa_float_round_mode_32 0
		.amdhsa_float_round_mode_16_64 0
		.amdhsa_float_denorm_mode_32 3
		.amdhsa_float_denorm_mode_16_64 3
		.amdhsa_dx10_clamp 1
		.amdhsa_ieee_mode 1
		.amdhsa_fp16_overflow 0
		.amdhsa_tg_split 0
		.amdhsa_exception_fp_ieee_invalid_op 0
		.amdhsa_exception_fp_denorm_src 0
		.amdhsa_exception_fp_ieee_div_zero 0
		.amdhsa_exception_fp_ieee_overflow 0
		.amdhsa_exception_fp_ieee_underflow 0
		.amdhsa_exception_fp_ieee_inexact 0
		.amdhsa_exception_int_div_zero 0
	.end_amdhsa_kernel
	.section	.text._ZN2at6native12cross_kernelIN3c108BFloat16E16OffsetCalculatorILi3EjLb0EEiEEviPT_PKS6_S9_T0_T1_SB_SB_,"axG",@progbits,_ZN2at6native12cross_kernelIN3c108BFloat16E16OffsetCalculatorILi3EjLb0EEiEEviPT_PKS6_S9_T0_T1_SB_SB_,comdat
.Lfunc_end21:
	.size	_ZN2at6native12cross_kernelIN3c108BFloat16E16OffsetCalculatorILi3EjLb0EEiEEviPT_PKS6_S9_T0_T1_SB_SB_, .Lfunc_end21-_ZN2at6native12cross_kernelIN3c108BFloat16E16OffsetCalculatorILi3EjLb0EEiEEviPT_PKS6_S9_T0_T1_SB_SB_
                                        ; -- End function
	.set _ZN2at6native12cross_kernelIN3c108BFloat16E16OffsetCalculatorILi3EjLb0EEiEEviPT_PKS6_S9_T0_T1_SB_SB_.num_vgpr, 24
	.set _ZN2at6native12cross_kernelIN3c108BFloat16E16OffsetCalculatorILi3EjLb0EEiEEviPT_PKS6_S9_T0_T1_SB_SB_.num_agpr, 0
	.set _ZN2at6native12cross_kernelIN3c108BFloat16E16OffsetCalculatorILi3EjLb0EEiEEviPT_PKS6_S9_T0_T1_SB_SB_.numbered_sgpr, 79
	.set _ZN2at6native12cross_kernelIN3c108BFloat16E16OffsetCalculatorILi3EjLb0EEiEEviPT_PKS6_S9_T0_T1_SB_SB_.num_named_barrier, 0
	.set _ZN2at6native12cross_kernelIN3c108BFloat16E16OffsetCalculatorILi3EjLb0EEiEEviPT_PKS6_S9_T0_T1_SB_SB_.private_seg_size, 0
	.set _ZN2at6native12cross_kernelIN3c108BFloat16E16OffsetCalculatorILi3EjLb0EEiEEviPT_PKS6_S9_T0_T1_SB_SB_.uses_vcc, 1
	.set _ZN2at6native12cross_kernelIN3c108BFloat16E16OffsetCalculatorILi3EjLb0EEiEEviPT_PKS6_S9_T0_T1_SB_SB_.uses_flat_scratch, 0
	.set _ZN2at6native12cross_kernelIN3c108BFloat16E16OffsetCalculatorILi3EjLb0EEiEEviPT_PKS6_S9_T0_T1_SB_SB_.has_dyn_sized_stack, 0
	.set _ZN2at6native12cross_kernelIN3c108BFloat16E16OffsetCalculatorILi3EjLb0EEiEEviPT_PKS6_S9_T0_T1_SB_SB_.has_recursion, 0
	.set _ZN2at6native12cross_kernelIN3c108BFloat16E16OffsetCalculatorILi3EjLb0EEiEEviPT_PKS6_S9_T0_T1_SB_SB_.has_indirect_call, 0
	.section	.AMDGPU.csdata,"",@progbits
; Kernel info:
; codeLenInByte = 1568
; TotalNumSgprs: 85
; NumVgprs: 24
; NumAgprs: 0
; TotalNumVgprs: 24
; ScratchSize: 0
; MemoryBound: 0
; FloatMode: 240
; IeeeMode: 1
; LDSByteSize: 0 bytes/workgroup (compile time only)
; SGPRBlocks: 10
; VGPRBlocks: 2
; NumSGPRsForWavesPerEU: 85
; NumVGPRsForWavesPerEU: 24
; AccumOffset: 24
; Occupancy: 8
; WaveLimiterHint : 1
; COMPUTE_PGM_RSRC2:SCRATCH_EN: 0
; COMPUTE_PGM_RSRC2:USER_SGPR: 2
; COMPUTE_PGM_RSRC2:TRAP_HANDLER: 0
; COMPUTE_PGM_RSRC2:TGID_X_EN: 1
; COMPUTE_PGM_RSRC2:TGID_Y_EN: 0
; COMPUTE_PGM_RSRC2:TGID_Z_EN: 0
; COMPUTE_PGM_RSRC2:TIDIG_COMP_CNT: 0
; COMPUTE_PGM_RSRC3_GFX90A:ACCUM_OFFSET: 5
; COMPUTE_PGM_RSRC3_GFX90A:TG_SPLIT: 0
	.section	.AMDGPU.gpr_maximums,"",@progbits
	.set amdgpu.max_num_vgpr, 0
	.set amdgpu.max_num_agpr, 0
	.set amdgpu.max_num_sgpr, 0
	.section	.AMDGPU.csdata,"",@progbits
	.type	__hip_cuid_f32bedd2242cb60,@object ; @__hip_cuid_f32bedd2242cb60
	.section	.bss,"aw",@nobits
	.globl	__hip_cuid_f32bedd2242cb60
__hip_cuid_f32bedd2242cb60:
	.byte	0                               ; 0x0
	.size	__hip_cuid_f32bedd2242cb60, 1

	.ident	"AMD clang version 22.0.0git (https://github.com/RadeonOpenCompute/llvm-project roc-7.2.4 26084 f58b06dce1f9c15707c5f808fd002e18c2accf7e)"
	.section	".note.GNU-stack","",@progbits
	.addrsig
	.addrsig_sym __hip_cuid_f32bedd2242cb60
	.amdgpu_metadata
---
amdhsa.kernels:
  - .agpr_count:     0
    .args:
      - .offset:         0
        .size:           4
        .value_kind:     by_value
      - .address_space:  global
        .offset:         8
        .size:           8
        .value_kind:     global_buffer
      - .address_space:  global
        .offset:         16
        .size:           8
        .value_kind:     global_buffer
      - .address_space:  global
        .offset:         24
        .size:           8
        .value_kind:     global_buffer
      - .offset:         32
        .size:           388
        .value_kind:     by_value
      - .offset:         424
        .size:           8
        .value_kind:     by_value
      - .offset:         432
        .size:           8
        .value_kind:     by_value
      - .offset:         440
        .size:           8
        .value_kind:     by_value
      - .offset:         448
        .size:           4
        .value_kind:     hidden_block_count_x
      - .offset:         452
        .size:           4
        .value_kind:     hidden_block_count_y
      - .offset:         456
        .size:           4
        .value_kind:     hidden_block_count_z
      - .offset:         460
        .size:           2
        .value_kind:     hidden_group_size_x
      - .offset:         462
        .size:           2
        .value_kind:     hidden_group_size_y
      - .offset:         464
        .size:           2
        .value_kind:     hidden_group_size_z
      - .offset:         466
        .size:           2
        .value_kind:     hidden_remainder_x
      - .offset:         468
        .size:           2
        .value_kind:     hidden_remainder_y
      - .offset:         470
        .size:           2
        .value_kind:     hidden_remainder_z
      - .offset:         488
        .size:           8
        .value_kind:     hidden_global_offset_x
      - .offset:         496
        .size:           8
        .value_kind:     hidden_global_offset_y
      - .offset:         504
        .size:           8
        .value_kind:     hidden_global_offset_z
      - .offset:         512
        .size:           2
        .value_kind:     hidden_grid_dims
    .group_segment_fixed_size: 0
    .kernarg_segment_align: 8
    .kernarg_segment_size: 704
    .language:       OpenCL C
    .language_version:
      - 2
      - 0
    .max_flat_workgroup_size: 1024
    .name:           _ZN2at6native12cross_kernelIh16OffsetCalculatorILi3EjLb0EElEEviPT_PKS4_S7_T0_T1_S9_S9_
    .private_segment_fixed_size: 0
    .sgpr_count:     80
    .sgpr_spill_count: 0
    .symbol:         _ZN2at6native12cross_kernelIh16OffsetCalculatorILi3EjLb0EElEEviPT_PKS4_S7_T0_T1_S9_S9_.kd
    .uniform_work_group_size: 1
    .uses_dynamic_stack: false
    .vgpr_count:     18
    .vgpr_spill_count: 0
    .wavefront_size: 64
  - .agpr_count:     0
    .args:
      - .offset:         0
        .size:           4
        .value_kind:     by_value
      - .address_space:  global
        .offset:         8
        .size:           8
        .value_kind:     global_buffer
      - .address_space:  global
        .offset:         16
        .size:           8
        .value_kind:     global_buffer
      - .address_space:  global
        .offset:         24
        .size:           8
        .value_kind:     global_buffer
      - .offset:         32
        .size:           388
        .value_kind:     by_value
      - .offset:         420
        .size:           4
        .value_kind:     by_value
      - .offset:         424
        .size:           4
        .value_kind:     by_value
      - .offset:         428
        .size:           4
        .value_kind:     by_value
      - .offset:         432
        .size:           4
        .value_kind:     hidden_block_count_x
      - .offset:         436
        .size:           4
        .value_kind:     hidden_block_count_y
      - .offset:         440
        .size:           4
        .value_kind:     hidden_block_count_z
      - .offset:         444
        .size:           2
        .value_kind:     hidden_group_size_x
      - .offset:         446
        .size:           2
        .value_kind:     hidden_group_size_y
      - .offset:         448
        .size:           2
        .value_kind:     hidden_group_size_z
      - .offset:         450
        .size:           2
        .value_kind:     hidden_remainder_x
      - .offset:         452
        .size:           2
        .value_kind:     hidden_remainder_y
      - .offset:         454
        .size:           2
        .value_kind:     hidden_remainder_z
      - .offset:         472
        .size:           8
        .value_kind:     hidden_global_offset_x
      - .offset:         480
        .size:           8
        .value_kind:     hidden_global_offset_y
      - .offset:         488
        .size:           8
        .value_kind:     hidden_global_offset_z
      - .offset:         496
        .size:           2
        .value_kind:     hidden_grid_dims
    .group_segment_fixed_size: 0
    .kernarg_segment_align: 8
    .kernarg_segment_size: 688
    .language:       OpenCL C
    .language_version:
      - 2
      - 0
    .max_flat_workgroup_size: 1024
    .name:           _ZN2at6native12cross_kernelIh16OffsetCalculatorILi3EjLb0EEiEEviPT_PKS4_S7_T0_T1_S9_S9_
    .private_segment_fixed_size: 0
    .sgpr_count:     80
    .sgpr_spill_count: 0
    .symbol:         _ZN2at6native12cross_kernelIh16OffsetCalculatorILi3EjLb0EEiEEviPT_PKS4_S7_T0_T1_S9_S9_.kd
    .uniform_work_group_size: 1
    .uses_dynamic_stack: false
    .vgpr_count:     18
    .vgpr_spill_count: 0
    .wavefront_size: 64
  - .agpr_count:     0
    .args:
      - .offset:         0
        .size:           4
        .value_kind:     by_value
      - .address_space:  global
        .offset:         8
        .size:           8
        .value_kind:     global_buffer
      - .address_space:  global
        .offset:         16
        .size:           8
        .value_kind:     global_buffer
      - .address_space:  global
        .offset:         24
        .size:           8
        .value_kind:     global_buffer
      - .offset:         32
        .size:           388
        .value_kind:     by_value
      - .offset:         424
        .size:           8
        .value_kind:     by_value
      - .offset:         432
        .size:           8
        .value_kind:     by_value
      - .offset:         440
        .size:           8
        .value_kind:     by_value
      - .offset:         448
        .size:           4
        .value_kind:     hidden_block_count_x
      - .offset:         452
        .size:           4
        .value_kind:     hidden_block_count_y
      - .offset:         456
        .size:           4
        .value_kind:     hidden_block_count_z
      - .offset:         460
        .size:           2
        .value_kind:     hidden_group_size_x
      - .offset:         462
        .size:           2
        .value_kind:     hidden_group_size_y
      - .offset:         464
        .size:           2
        .value_kind:     hidden_group_size_z
      - .offset:         466
        .size:           2
        .value_kind:     hidden_remainder_x
      - .offset:         468
        .size:           2
        .value_kind:     hidden_remainder_y
      - .offset:         470
        .size:           2
        .value_kind:     hidden_remainder_z
      - .offset:         488
        .size:           8
        .value_kind:     hidden_global_offset_x
      - .offset:         496
        .size:           8
        .value_kind:     hidden_global_offset_y
      - .offset:         504
        .size:           8
        .value_kind:     hidden_global_offset_z
      - .offset:         512
        .size:           2
        .value_kind:     hidden_grid_dims
    .group_segment_fixed_size: 0
    .kernarg_segment_align: 8
    .kernarg_segment_size: 704
    .language:       OpenCL C
    .language_version:
      - 2
      - 0
    .max_flat_workgroup_size: 1024
    .name:           _ZN2at6native12cross_kernelIa16OffsetCalculatorILi3EjLb0EElEEviPT_PKS4_S7_T0_T1_S9_S9_
    .private_segment_fixed_size: 0
    .sgpr_count:     80
    .sgpr_spill_count: 0
    .symbol:         _ZN2at6native12cross_kernelIa16OffsetCalculatorILi3EjLb0EElEEviPT_PKS4_S7_T0_T1_S9_S9_.kd
    .uniform_work_group_size: 1
    .uses_dynamic_stack: false
    .vgpr_count:     18
    .vgpr_spill_count: 0
    .wavefront_size: 64
  - .agpr_count:     0
    .args:
      - .offset:         0
        .size:           4
        .value_kind:     by_value
      - .address_space:  global
        .offset:         8
        .size:           8
        .value_kind:     global_buffer
      - .address_space:  global
        .offset:         16
        .size:           8
        .value_kind:     global_buffer
      - .address_space:  global
        .offset:         24
        .size:           8
        .value_kind:     global_buffer
      - .offset:         32
        .size:           388
        .value_kind:     by_value
      - .offset:         420
        .size:           4
        .value_kind:     by_value
      - .offset:         424
        .size:           4
        .value_kind:     by_value
      - .offset:         428
        .size:           4
        .value_kind:     by_value
      - .offset:         432
        .size:           4
        .value_kind:     hidden_block_count_x
      - .offset:         436
        .size:           4
        .value_kind:     hidden_block_count_y
      - .offset:         440
        .size:           4
        .value_kind:     hidden_block_count_z
      - .offset:         444
        .size:           2
        .value_kind:     hidden_group_size_x
      - .offset:         446
        .size:           2
        .value_kind:     hidden_group_size_y
      - .offset:         448
        .size:           2
        .value_kind:     hidden_group_size_z
      - .offset:         450
        .size:           2
        .value_kind:     hidden_remainder_x
      - .offset:         452
        .size:           2
        .value_kind:     hidden_remainder_y
      - .offset:         454
        .size:           2
        .value_kind:     hidden_remainder_z
      - .offset:         472
        .size:           8
        .value_kind:     hidden_global_offset_x
      - .offset:         480
        .size:           8
        .value_kind:     hidden_global_offset_y
      - .offset:         488
        .size:           8
        .value_kind:     hidden_global_offset_z
      - .offset:         496
        .size:           2
        .value_kind:     hidden_grid_dims
    .group_segment_fixed_size: 0
    .kernarg_segment_align: 8
    .kernarg_segment_size: 688
    .language:       OpenCL C
    .language_version:
      - 2
      - 0
    .max_flat_workgroup_size: 1024
    .name:           _ZN2at6native12cross_kernelIa16OffsetCalculatorILi3EjLb0EEiEEviPT_PKS4_S7_T0_T1_S9_S9_
    .private_segment_fixed_size: 0
    .sgpr_count:     80
    .sgpr_spill_count: 0
    .symbol:         _ZN2at6native12cross_kernelIa16OffsetCalculatorILi3EjLb0EEiEEviPT_PKS4_S7_T0_T1_S9_S9_.kd
    .uniform_work_group_size: 1
    .uses_dynamic_stack: false
    .vgpr_count:     18
    .vgpr_spill_count: 0
    .wavefront_size: 64
  - .agpr_count:     0
    .args:
      - .offset:         0
        .size:           4
        .value_kind:     by_value
      - .address_space:  global
        .offset:         8
        .size:           8
        .value_kind:     global_buffer
      - .address_space:  global
        .offset:         16
        .size:           8
        .value_kind:     global_buffer
      - .address_space:  global
        .offset:         24
        .size:           8
        .value_kind:     global_buffer
      - .offset:         32
        .size:           388
        .value_kind:     by_value
      - .offset:         424
        .size:           8
        .value_kind:     by_value
      - .offset:         432
        .size:           8
        .value_kind:     by_value
      - .offset:         440
        .size:           8
        .value_kind:     by_value
      - .offset:         448
        .size:           4
        .value_kind:     hidden_block_count_x
      - .offset:         452
        .size:           4
        .value_kind:     hidden_block_count_y
      - .offset:         456
        .size:           4
        .value_kind:     hidden_block_count_z
      - .offset:         460
        .size:           2
        .value_kind:     hidden_group_size_x
      - .offset:         462
        .size:           2
        .value_kind:     hidden_group_size_y
      - .offset:         464
        .size:           2
        .value_kind:     hidden_group_size_z
      - .offset:         466
        .size:           2
        .value_kind:     hidden_remainder_x
      - .offset:         468
        .size:           2
        .value_kind:     hidden_remainder_y
      - .offset:         470
        .size:           2
        .value_kind:     hidden_remainder_z
      - .offset:         488
        .size:           8
        .value_kind:     hidden_global_offset_x
      - .offset:         496
        .size:           8
        .value_kind:     hidden_global_offset_y
      - .offset:         504
        .size:           8
        .value_kind:     hidden_global_offset_z
      - .offset:         512
        .size:           2
        .value_kind:     hidden_grid_dims
    .group_segment_fixed_size: 0
    .kernarg_segment_align: 8
    .kernarg_segment_size: 704
    .language:       OpenCL C
    .language_version:
      - 2
      - 0
    .max_flat_workgroup_size: 1024
    .name:           _ZN2at6native12cross_kernelIi16OffsetCalculatorILi3EjLb0EElEEviPT_PKS4_S7_T0_T1_S9_S9_
    .private_segment_fixed_size: 0
    .sgpr_count:     84
    .sgpr_spill_count: 0
    .symbol:         _ZN2at6native12cross_kernelIi16OffsetCalculatorILi3EjLb0EElEEviPT_PKS4_S7_T0_T1_S9_S9_.kd
    .uniform_work_group_size: 1
    .uses_dynamic_stack: false
    .vgpr_count:     17
    .vgpr_spill_count: 0
    .wavefront_size: 64
  - .agpr_count:     0
    .args:
      - .offset:         0
        .size:           4
        .value_kind:     by_value
      - .address_space:  global
        .offset:         8
        .size:           8
        .value_kind:     global_buffer
      - .address_space:  global
        .offset:         16
        .size:           8
        .value_kind:     global_buffer
      - .address_space:  global
        .offset:         24
        .size:           8
        .value_kind:     global_buffer
      - .offset:         32
        .size:           388
        .value_kind:     by_value
      - .offset:         420
        .size:           4
        .value_kind:     by_value
      - .offset:         424
        .size:           4
        .value_kind:     by_value
      - .offset:         428
        .size:           4
        .value_kind:     by_value
      - .offset:         432
        .size:           4
        .value_kind:     hidden_block_count_x
      - .offset:         436
        .size:           4
        .value_kind:     hidden_block_count_y
      - .offset:         440
        .size:           4
        .value_kind:     hidden_block_count_z
      - .offset:         444
        .size:           2
        .value_kind:     hidden_group_size_x
      - .offset:         446
        .size:           2
        .value_kind:     hidden_group_size_y
      - .offset:         448
        .size:           2
        .value_kind:     hidden_group_size_z
      - .offset:         450
        .size:           2
        .value_kind:     hidden_remainder_x
      - .offset:         452
        .size:           2
        .value_kind:     hidden_remainder_y
      - .offset:         454
        .size:           2
        .value_kind:     hidden_remainder_z
      - .offset:         472
        .size:           8
        .value_kind:     hidden_global_offset_x
      - .offset:         480
        .size:           8
        .value_kind:     hidden_global_offset_y
      - .offset:         488
        .size:           8
        .value_kind:     hidden_global_offset_z
      - .offset:         496
        .size:           2
        .value_kind:     hidden_grid_dims
    .group_segment_fixed_size: 0
    .kernarg_segment_align: 8
    .kernarg_segment_size: 688
    .language:       OpenCL C
    .language_version:
      - 2
      - 0
    .max_flat_workgroup_size: 1024
    .name:           _ZN2at6native12cross_kernelIi16OffsetCalculatorILi3EjLb0EEiEEviPT_PKS4_S7_T0_T1_S9_S9_
    .private_segment_fixed_size: 0
    .sgpr_count:     84
    .sgpr_spill_count: 0
    .symbol:         _ZN2at6native12cross_kernelIi16OffsetCalculatorILi3EjLb0EEiEEviPT_PKS4_S7_T0_T1_S9_S9_.kd
    .uniform_work_group_size: 1
    .uses_dynamic_stack: false
    .vgpr_count:     17
    .vgpr_spill_count: 0
    .wavefront_size: 64
  - .agpr_count:     0
    .args:
      - .offset:         0
        .size:           4
        .value_kind:     by_value
      - .address_space:  global
        .offset:         8
        .size:           8
        .value_kind:     global_buffer
      - .address_space:  global
        .offset:         16
        .size:           8
        .value_kind:     global_buffer
      - .address_space:  global
        .offset:         24
        .size:           8
        .value_kind:     global_buffer
      - .offset:         32
        .size:           388
        .value_kind:     by_value
      - .offset:         424
        .size:           8
        .value_kind:     by_value
      - .offset:         432
        .size:           8
        .value_kind:     by_value
      - .offset:         440
        .size:           8
        .value_kind:     by_value
      - .offset:         448
        .size:           4
        .value_kind:     hidden_block_count_x
      - .offset:         452
        .size:           4
        .value_kind:     hidden_block_count_y
      - .offset:         456
        .size:           4
        .value_kind:     hidden_block_count_z
      - .offset:         460
        .size:           2
        .value_kind:     hidden_group_size_x
      - .offset:         462
        .size:           2
        .value_kind:     hidden_group_size_y
      - .offset:         464
        .size:           2
        .value_kind:     hidden_group_size_z
      - .offset:         466
        .size:           2
        .value_kind:     hidden_remainder_x
      - .offset:         468
        .size:           2
        .value_kind:     hidden_remainder_y
      - .offset:         470
        .size:           2
        .value_kind:     hidden_remainder_z
      - .offset:         488
        .size:           8
        .value_kind:     hidden_global_offset_x
      - .offset:         496
        .size:           8
        .value_kind:     hidden_global_offset_y
      - .offset:         504
        .size:           8
        .value_kind:     hidden_global_offset_z
      - .offset:         512
        .size:           2
        .value_kind:     hidden_grid_dims
    .group_segment_fixed_size: 0
    .kernarg_segment_align: 8
    .kernarg_segment_size: 704
    .language:       OpenCL C
    .language_version:
      - 2
      - 0
    .max_flat_workgroup_size: 1024
    .name:           _ZN2at6native12cross_kernelIl16OffsetCalculatorILi3EjLb0EElEEviPT_PKS4_S7_T0_T1_S9_S9_
    .private_segment_fixed_size: 0
    .sgpr_count:     84
    .sgpr_spill_count: 0
    .symbol:         _ZN2at6native12cross_kernelIl16OffsetCalculatorILi3EjLb0EElEEviPT_PKS4_S7_T0_T1_S9_S9_.kd
    .uniform_work_group_size: 1
    .uses_dynamic_stack: false
    .vgpr_count:     32
    .vgpr_spill_count: 0
    .wavefront_size: 64
  - .agpr_count:     0
    .args:
      - .offset:         0
        .size:           4
        .value_kind:     by_value
      - .address_space:  global
        .offset:         8
        .size:           8
        .value_kind:     global_buffer
      - .address_space:  global
        .offset:         16
        .size:           8
        .value_kind:     global_buffer
      - .address_space:  global
        .offset:         24
        .size:           8
        .value_kind:     global_buffer
      - .offset:         32
        .size:           388
        .value_kind:     by_value
      - .offset:         420
        .size:           4
        .value_kind:     by_value
      - .offset:         424
        .size:           4
        .value_kind:     by_value
      - .offset:         428
        .size:           4
        .value_kind:     by_value
      - .offset:         432
        .size:           4
        .value_kind:     hidden_block_count_x
      - .offset:         436
        .size:           4
        .value_kind:     hidden_block_count_y
      - .offset:         440
        .size:           4
        .value_kind:     hidden_block_count_z
      - .offset:         444
        .size:           2
        .value_kind:     hidden_group_size_x
      - .offset:         446
        .size:           2
        .value_kind:     hidden_group_size_y
      - .offset:         448
        .size:           2
        .value_kind:     hidden_group_size_z
      - .offset:         450
        .size:           2
        .value_kind:     hidden_remainder_x
      - .offset:         452
        .size:           2
        .value_kind:     hidden_remainder_y
      - .offset:         454
        .size:           2
        .value_kind:     hidden_remainder_z
      - .offset:         472
        .size:           8
        .value_kind:     hidden_global_offset_x
      - .offset:         480
        .size:           8
        .value_kind:     hidden_global_offset_y
      - .offset:         488
        .size:           8
        .value_kind:     hidden_global_offset_z
      - .offset:         496
        .size:           2
        .value_kind:     hidden_grid_dims
    .group_segment_fixed_size: 0
    .kernarg_segment_align: 8
    .kernarg_segment_size: 688
    .language:       OpenCL C
    .language_version:
      - 2
      - 0
    .max_flat_workgroup_size: 1024
    .name:           _ZN2at6native12cross_kernelIl16OffsetCalculatorILi3EjLb0EEiEEviPT_PKS4_S7_T0_T1_S9_S9_
    .private_segment_fixed_size: 0
    .sgpr_count:     84
    .sgpr_spill_count: 0
    .symbol:         _ZN2at6native12cross_kernelIl16OffsetCalculatorILi3EjLb0EEiEEviPT_PKS4_S7_T0_T1_S9_S9_.kd
    .uniform_work_group_size: 1
    .uses_dynamic_stack: false
    .vgpr_count:     32
    .vgpr_spill_count: 0
    .wavefront_size: 64
  - .agpr_count:     0
    .args:
      - .offset:         0
        .size:           4
        .value_kind:     by_value
      - .address_space:  global
        .offset:         8
        .size:           8
        .value_kind:     global_buffer
      - .address_space:  global
        .offset:         16
        .size:           8
        .value_kind:     global_buffer
      - .address_space:  global
        .offset:         24
        .size:           8
        .value_kind:     global_buffer
      - .offset:         32
        .size:           388
        .value_kind:     by_value
      - .offset:         424
        .size:           8
        .value_kind:     by_value
      - .offset:         432
        .size:           8
        .value_kind:     by_value
      - .offset:         440
        .size:           8
        .value_kind:     by_value
      - .offset:         448
        .size:           4
        .value_kind:     hidden_block_count_x
      - .offset:         452
        .size:           4
        .value_kind:     hidden_block_count_y
      - .offset:         456
        .size:           4
        .value_kind:     hidden_block_count_z
      - .offset:         460
        .size:           2
        .value_kind:     hidden_group_size_x
      - .offset:         462
        .size:           2
        .value_kind:     hidden_group_size_y
      - .offset:         464
        .size:           2
        .value_kind:     hidden_group_size_z
      - .offset:         466
        .size:           2
        .value_kind:     hidden_remainder_x
      - .offset:         468
        .size:           2
        .value_kind:     hidden_remainder_y
      - .offset:         470
        .size:           2
        .value_kind:     hidden_remainder_z
      - .offset:         488
        .size:           8
        .value_kind:     hidden_global_offset_x
      - .offset:         496
        .size:           8
        .value_kind:     hidden_global_offset_y
      - .offset:         504
        .size:           8
        .value_kind:     hidden_global_offset_z
      - .offset:         512
        .size:           2
        .value_kind:     hidden_grid_dims
    .group_segment_fixed_size: 0
    .kernarg_segment_align: 8
    .kernarg_segment_size: 704
    .language:       OpenCL C
    .language_version:
      - 2
      - 0
    .max_flat_workgroup_size: 1024
    .name:           _ZN2at6native12cross_kernelIs16OffsetCalculatorILi3EjLb0EElEEviPT_PKS4_S7_T0_T1_S9_S9_
    .private_segment_fixed_size: 0
    .sgpr_count:     84
    .sgpr_spill_count: 0
    .symbol:         _ZN2at6native12cross_kernelIs16OffsetCalculatorILi3EjLb0EElEEviPT_PKS4_S7_T0_T1_S9_S9_.kd
    .uniform_work_group_size: 1
    .uses_dynamic_stack: false
    .vgpr_count:     17
    .vgpr_spill_count: 0
    .wavefront_size: 64
  - .agpr_count:     0
    .args:
      - .offset:         0
        .size:           4
        .value_kind:     by_value
      - .address_space:  global
        .offset:         8
        .size:           8
        .value_kind:     global_buffer
      - .address_space:  global
        .offset:         16
        .size:           8
        .value_kind:     global_buffer
      - .address_space:  global
        .offset:         24
        .size:           8
        .value_kind:     global_buffer
      - .offset:         32
        .size:           388
        .value_kind:     by_value
      - .offset:         420
        .size:           4
        .value_kind:     by_value
      - .offset:         424
        .size:           4
        .value_kind:     by_value
      - .offset:         428
        .size:           4
        .value_kind:     by_value
      - .offset:         432
        .size:           4
        .value_kind:     hidden_block_count_x
      - .offset:         436
        .size:           4
        .value_kind:     hidden_block_count_y
      - .offset:         440
        .size:           4
        .value_kind:     hidden_block_count_z
      - .offset:         444
        .size:           2
        .value_kind:     hidden_group_size_x
      - .offset:         446
        .size:           2
        .value_kind:     hidden_group_size_y
      - .offset:         448
        .size:           2
        .value_kind:     hidden_group_size_z
      - .offset:         450
        .size:           2
        .value_kind:     hidden_remainder_x
      - .offset:         452
        .size:           2
        .value_kind:     hidden_remainder_y
      - .offset:         454
        .size:           2
        .value_kind:     hidden_remainder_z
      - .offset:         472
        .size:           8
        .value_kind:     hidden_global_offset_x
      - .offset:         480
        .size:           8
        .value_kind:     hidden_global_offset_y
      - .offset:         488
        .size:           8
        .value_kind:     hidden_global_offset_z
      - .offset:         496
        .size:           2
        .value_kind:     hidden_grid_dims
    .group_segment_fixed_size: 0
    .kernarg_segment_align: 8
    .kernarg_segment_size: 688
    .language:       OpenCL C
    .language_version:
      - 2
      - 0
    .max_flat_workgroup_size: 1024
    .name:           _ZN2at6native12cross_kernelIs16OffsetCalculatorILi3EjLb0EEiEEviPT_PKS4_S7_T0_T1_S9_S9_
    .private_segment_fixed_size: 0
    .sgpr_count:     84
    .sgpr_spill_count: 0
    .symbol:         _ZN2at6native12cross_kernelIs16OffsetCalculatorILi3EjLb0EEiEEviPT_PKS4_S7_T0_T1_S9_S9_.kd
    .uniform_work_group_size: 1
    .uses_dynamic_stack: false
    .vgpr_count:     17
    .vgpr_spill_count: 0
    .wavefront_size: 64
  - .agpr_count:     0
    .args:
      - .offset:         0
        .size:           4
        .value_kind:     by_value
      - .address_space:  global
        .offset:         8
        .size:           8
        .value_kind:     global_buffer
      - .address_space:  global
        .offset:         16
        .size:           8
        .value_kind:     global_buffer
      - .address_space:  global
        .offset:         24
        .size:           8
        .value_kind:     global_buffer
      - .offset:         32
        .size:           388
        .value_kind:     by_value
      - .offset:         424
        .size:           8
        .value_kind:     by_value
      - .offset:         432
        .size:           8
        .value_kind:     by_value
      - .offset:         440
        .size:           8
        .value_kind:     by_value
      - .offset:         448
        .size:           4
        .value_kind:     hidden_block_count_x
      - .offset:         452
        .size:           4
        .value_kind:     hidden_block_count_y
      - .offset:         456
        .size:           4
        .value_kind:     hidden_block_count_z
      - .offset:         460
        .size:           2
        .value_kind:     hidden_group_size_x
      - .offset:         462
        .size:           2
        .value_kind:     hidden_group_size_y
      - .offset:         464
        .size:           2
        .value_kind:     hidden_group_size_z
      - .offset:         466
        .size:           2
        .value_kind:     hidden_remainder_x
      - .offset:         468
        .size:           2
        .value_kind:     hidden_remainder_y
      - .offset:         470
        .size:           2
        .value_kind:     hidden_remainder_z
      - .offset:         488
        .size:           8
        .value_kind:     hidden_global_offset_x
      - .offset:         496
        .size:           8
        .value_kind:     hidden_global_offset_y
      - .offset:         504
        .size:           8
        .value_kind:     hidden_global_offset_z
      - .offset:         512
        .size:           2
        .value_kind:     hidden_grid_dims
    .group_segment_fixed_size: 0
    .kernarg_segment_align: 8
    .kernarg_segment_size: 704
    .language:       OpenCL C
    .language_version:
      - 2
      - 0
    .max_flat_workgroup_size: 1024
    .name:           _ZN2at6native12cross_kernelId16OffsetCalculatorILi3EjLb0EElEEviPT_PKS4_S7_T0_T1_S9_S9_
    .private_segment_fixed_size: 0
    .sgpr_count:     84
    .sgpr_spill_count: 0
    .symbol:         _ZN2at6native12cross_kernelId16OffsetCalculatorILi3EjLb0EElEEviPT_PKS4_S7_T0_T1_S9_S9_.kd
    .uniform_work_group_size: 1
    .uses_dynamic_stack: false
    .vgpr_count:     28
    .vgpr_spill_count: 0
    .wavefront_size: 64
  - .agpr_count:     0
    .args:
      - .offset:         0
        .size:           4
        .value_kind:     by_value
      - .address_space:  global
        .offset:         8
        .size:           8
        .value_kind:     global_buffer
      - .address_space:  global
        .offset:         16
        .size:           8
        .value_kind:     global_buffer
      - .address_space:  global
        .offset:         24
        .size:           8
        .value_kind:     global_buffer
      - .offset:         32
        .size:           388
        .value_kind:     by_value
      - .offset:         420
        .size:           4
        .value_kind:     by_value
      - .offset:         424
        .size:           4
        .value_kind:     by_value
      - .offset:         428
        .size:           4
        .value_kind:     by_value
      - .offset:         432
        .size:           4
        .value_kind:     hidden_block_count_x
      - .offset:         436
        .size:           4
        .value_kind:     hidden_block_count_y
      - .offset:         440
        .size:           4
        .value_kind:     hidden_block_count_z
      - .offset:         444
        .size:           2
        .value_kind:     hidden_group_size_x
      - .offset:         446
        .size:           2
        .value_kind:     hidden_group_size_y
      - .offset:         448
        .size:           2
        .value_kind:     hidden_group_size_z
      - .offset:         450
        .size:           2
        .value_kind:     hidden_remainder_x
      - .offset:         452
        .size:           2
        .value_kind:     hidden_remainder_y
      - .offset:         454
        .size:           2
        .value_kind:     hidden_remainder_z
      - .offset:         472
        .size:           8
        .value_kind:     hidden_global_offset_x
      - .offset:         480
        .size:           8
        .value_kind:     hidden_global_offset_y
      - .offset:         488
        .size:           8
        .value_kind:     hidden_global_offset_z
      - .offset:         496
        .size:           2
        .value_kind:     hidden_grid_dims
    .group_segment_fixed_size: 0
    .kernarg_segment_align: 8
    .kernarg_segment_size: 688
    .language:       OpenCL C
    .language_version:
      - 2
      - 0
    .max_flat_workgroup_size: 1024
    .name:           _ZN2at6native12cross_kernelId16OffsetCalculatorILi3EjLb0EEiEEviPT_PKS4_S7_T0_T1_S9_S9_
    .private_segment_fixed_size: 0
    .sgpr_count:     84
    .sgpr_spill_count: 0
    .symbol:         _ZN2at6native12cross_kernelId16OffsetCalculatorILi3EjLb0EEiEEviPT_PKS4_S7_T0_T1_S9_S9_.kd
    .uniform_work_group_size: 1
    .uses_dynamic_stack: false
    .vgpr_count:     28
    .vgpr_spill_count: 0
    .wavefront_size: 64
  - .agpr_count:     0
    .args:
      - .offset:         0
        .size:           4
        .value_kind:     by_value
      - .address_space:  global
        .offset:         8
        .size:           8
        .value_kind:     global_buffer
      - .address_space:  global
        .offset:         16
        .size:           8
        .value_kind:     global_buffer
      - .address_space:  global
        .offset:         24
        .size:           8
        .value_kind:     global_buffer
      - .offset:         32
        .size:           388
        .value_kind:     by_value
      - .offset:         424
        .size:           8
        .value_kind:     by_value
      - .offset:         432
        .size:           8
        .value_kind:     by_value
      - .offset:         440
        .size:           8
        .value_kind:     by_value
      - .offset:         448
        .size:           4
        .value_kind:     hidden_block_count_x
      - .offset:         452
        .size:           4
        .value_kind:     hidden_block_count_y
      - .offset:         456
        .size:           4
        .value_kind:     hidden_block_count_z
      - .offset:         460
        .size:           2
        .value_kind:     hidden_group_size_x
      - .offset:         462
        .size:           2
        .value_kind:     hidden_group_size_y
      - .offset:         464
        .size:           2
        .value_kind:     hidden_group_size_z
      - .offset:         466
        .size:           2
        .value_kind:     hidden_remainder_x
      - .offset:         468
        .size:           2
        .value_kind:     hidden_remainder_y
      - .offset:         470
        .size:           2
        .value_kind:     hidden_remainder_z
      - .offset:         488
        .size:           8
        .value_kind:     hidden_global_offset_x
      - .offset:         496
        .size:           8
        .value_kind:     hidden_global_offset_y
      - .offset:         504
        .size:           8
        .value_kind:     hidden_global_offset_z
      - .offset:         512
        .size:           2
        .value_kind:     hidden_grid_dims
    .group_segment_fixed_size: 0
    .kernarg_segment_align: 8
    .kernarg_segment_size: 704
    .language:       OpenCL C
    .language_version:
      - 2
      - 0
    .max_flat_workgroup_size: 1024
    .name:           _ZN2at6native12cross_kernelIf16OffsetCalculatorILi3EjLb0EElEEviPT_PKS4_S7_T0_T1_S9_S9_
    .private_segment_fixed_size: 0
    .sgpr_count:     84
    .sgpr_spill_count: 0
    .symbol:         _ZN2at6native12cross_kernelIf16OffsetCalculatorILi3EjLb0EElEEviPT_PKS4_S7_T0_T1_S9_S9_.kd
    .uniform_work_group_size: 1
    .uses_dynamic_stack: false
    .vgpr_count:     18
    .vgpr_spill_count: 0
    .wavefront_size: 64
  - .agpr_count:     0
    .args:
      - .offset:         0
        .size:           4
        .value_kind:     by_value
      - .address_space:  global
        .offset:         8
        .size:           8
        .value_kind:     global_buffer
      - .address_space:  global
        .offset:         16
        .size:           8
        .value_kind:     global_buffer
      - .address_space:  global
        .offset:         24
        .size:           8
        .value_kind:     global_buffer
      - .offset:         32
        .size:           388
        .value_kind:     by_value
      - .offset:         420
        .size:           4
        .value_kind:     by_value
      - .offset:         424
        .size:           4
        .value_kind:     by_value
      - .offset:         428
        .size:           4
        .value_kind:     by_value
      - .offset:         432
        .size:           4
        .value_kind:     hidden_block_count_x
      - .offset:         436
        .size:           4
        .value_kind:     hidden_block_count_y
      - .offset:         440
        .size:           4
        .value_kind:     hidden_block_count_z
      - .offset:         444
        .size:           2
        .value_kind:     hidden_group_size_x
      - .offset:         446
        .size:           2
        .value_kind:     hidden_group_size_y
      - .offset:         448
        .size:           2
        .value_kind:     hidden_group_size_z
      - .offset:         450
        .size:           2
        .value_kind:     hidden_remainder_x
      - .offset:         452
        .size:           2
        .value_kind:     hidden_remainder_y
      - .offset:         454
        .size:           2
        .value_kind:     hidden_remainder_z
      - .offset:         472
        .size:           8
        .value_kind:     hidden_global_offset_x
      - .offset:         480
        .size:           8
        .value_kind:     hidden_global_offset_y
      - .offset:         488
        .size:           8
        .value_kind:     hidden_global_offset_z
      - .offset:         496
        .size:           2
        .value_kind:     hidden_grid_dims
    .group_segment_fixed_size: 0
    .kernarg_segment_align: 8
    .kernarg_segment_size: 688
    .language:       OpenCL C
    .language_version:
      - 2
      - 0
    .max_flat_workgroup_size: 1024
    .name:           _ZN2at6native12cross_kernelIf16OffsetCalculatorILi3EjLb0EEiEEviPT_PKS4_S7_T0_T1_S9_S9_
    .private_segment_fixed_size: 0
    .sgpr_count:     84
    .sgpr_spill_count: 0
    .symbol:         _ZN2at6native12cross_kernelIf16OffsetCalculatorILi3EjLb0EEiEEviPT_PKS4_S7_T0_T1_S9_S9_.kd
    .uniform_work_group_size: 1
    .uses_dynamic_stack: false
    .vgpr_count:     18
    .vgpr_spill_count: 0
    .wavefront_size: 64
  - .agpr_count:     0
    .args:
      - .offset:         0
        .size:           4
        .value_kind:     by_value
      - .address_space:  global
        .offset:         8
        .size:           8
        .value_kind:     global_buffer
      - .address_space:  global
        .offset:         16
        .size:           8
        .value_kind:     global_buffer
      - .address_space:  global
        .offset:         24
        .size:           8
        .value_kind:     global_buffer
      - .offset:         32
        .size:           388
        .value_kind:     by_value
      - .offset:         424
        .size:           8
        .value_kind:     by_value
      - .offset:         432
        .size:           8
        .value_kind:     by_value
      - .offset:         440
        .size:           8
        .value_kind:     by_value
      - .offset:         448
        .size:           4
        .value_kind:     hidden_block_count_x
      - .offset:         452
        .size:           4
        .value_kind:     hidden_block_count_y
      - .offset:         456
        .size:           4
        .value_kind:     hidden_block_count_z
      - .offset:         460
        .size:           2
        .value_kind:     hidden_group_size_x
      - .offset:         462
        .size:           2
        .value_kind:     hidden_group_size_y
      - .offset:         464
        .size:           2
        .value_kind:     hidden_group_size_z
      - .offset:         466
        .size:           2
        .value_kind:     hidden_remainder_x
      - .offset:         468
        .size:           2
        .value_kind:     hidden_remainder_y
      - .offset:         470
        .size:           2
        .value_kind:     hidden_remainder_z
      - .offset:         488
        .size:           8
        .value_kind:     hidden_global_offset_x
      - .offset:         496
        .size:           8
        .value_kind:     hidden_global_offset_y
      - .offset:         504
        .size:           8
        .value_kind:     hidden_global_offset_z
      - .offset:         512
        .size:           2
        .value_kind:     hidden_grid_dims
    .group_segment_fixed_size: 0
    .kernarg_segment_align: 8
    .kernarg_segment_size: 704
    .language:       OpenCL C
    .language_version:
      - 2
      - 0
    .max_flat_workgroup_size: 1024
    .name:           _ZN2at6native12cross_kernelIN3c107complexIdEE16OffsetCalculatorILi3EjLb0EElEEviPT_PKS7_SA_T0_T1_SC_SC_
    .private_segment_fixed_size: 0
    .sgpr_count:     84
    .sgpr_spill_count: 0
    .symbol:         _ZN2at6native12cross_kernelIN3c107complexIdEE16OffsetCalculatorILi3EjLb0EElEEviPT_PKS7_SA_T0_T1_SC_SC_.kd
    .uniform_work_group_size: 1
    .uses_dynamic_stack: false
    .vgpr_count:     52
    .vgpr_spill_count: 0
    .wavefront_size: 64
  - .agpr_count:     0
    .args:
      - .offset:         0
        .size:           4
        .value_kind:     by_value
      - .address_space:  global
        .offset:         8
        .size:           8
        .value_kind:     global_buffer
      - .address_space:  global
        .offset:         16
        .size:           8
        .value_kind:     global_buffer
      - .address_space:  global
        .offset:         24
        .size:           8
        .value_kind:     global_buffer
      - .offset:         32
        .size:           388
        .value_kind:     by_value
      - .offset:         420
        .size:           4
        .value_kind:     by_value
      - .offset:         424
        .size:           4
        .value_kind:     by_value
      - .offset:         428
        .size:           4
        .value_kind:     by_value
      - .offset:         432
        .size:           4
        .value_kind:     hidden_block_count_x
      - .offset:         436
        .size:           4
        .value_kind:     hidden_block_count_y
      - .offset:         440
        .size:           4
        .value_kind:     hidden_block_count_z
      - .offset:         444
        .size:           2
        .value_kind:     hidden_group_size_x
      - .offset:         446
        .size:           2
        .value_kind:     hidden_group_size_y
      - .offset:         448
        .size:           2
        .value_kind:     hidden_group_size_z
      - .offset:         450
        .size:           2
        .value_kind:     hidden_remainder_x
      - .offset:         452
        .size:           2
        .value_kind:     hidden_remainder_y
      - .offset:         454
        .size:           2
        .value_kind:     hidden_remainder_z
      - .offset:         472
        .size:           8
        .value_kind:     hidden_global_offset_x
      - .offset:         480
        .size:           8
        .value_kind:     hidden_global_offset_y
      - .offset:         488
        .size:           8
        .value_kind:     hidden_global_offset_z
      - .offset:         496
        .size:           2
        .value_kind:     hidden_grid_dims
    .group_segment_fixed_size: 0
    .kernarg_segment_align: 8
    .kernarg_segment_size: 688
    .language:       OpenCL C
    .language_version:
      - 2
      - 0
    .max_flat_workgroup_size: 1024
    .name:           _ZN2at6native12cross_kernelIN3c107complexIdEE16OffsetCalculatorILi3EjLb0EEiEEviPT_PKS7_SA_T0_T1_SC_SC_
    .private_segment_fixed_size: 0
    .sgpr_count:     84
    .sgpr_spill_count: 0
    .symbol:         _ZN2at6native12cross_kernelIN3c107complexIdEE16OffsetCalculatorILi3EjLb0EEiEEviPT_PKS7_SA_T0_T1_SC_SC_.kd
    .uniform_work_group_size: 1
    .uses_dynamic_stack: false
    .vgpr_count:     52
    .vgpr_spill_count: 0
    .wavefront_size: 64
  - .agpr_count:     0
    .args:
      - .offset:         0
        .size:           4
        .value_kind:     by_value
      - .address_space:  global
        .offset:         8
        .size:           8
        .value_kind:     global_buffer
      - .address_space:  global
        .offset:         16
        .size:           8
        .value_kind:     global_buffer
      - .address_space:  global
        .offset:         24
        .size:           8
        .value_kind:     global_buffer
      - .offset:         32
        .size:           388
        .value_kind:     by_value
      - .offset:         424
        .size:           8
        .value_kind:     by_value
      - .offset:         432
        .size:           8
        .value_kind:     by_value
      - .offset:         440
        .size:           8
        .value_kind:     by_value
      - .offset:         448
        .size:           4
        .value_kind:     hidden_block_count_x
      - .offset:         452
        .size:           4
        .value_kind:     hidden_block_count_y
      - .offset:         456
        .size:           4
        .value_kind:     hidden_block_count_z
      - .offset:         460
        .size:           2
        .value_kind:     hidden_group_size_x
      - .offset:         462
        .size:           2
        .value_kind:     hidden_group_size_y
      - .offset:         464
        .size:           2
        .value_kind:     hidden_group_size_z
      - .offset:         466
        .size:           2
        .value_kind:     hidden_remainder_x
      - .offset:         468
        .size:           2
        .value_kind:     hidden_remainder_y
      - .offset:         470
        .size:           2
        .value_kind:     hidden_remainder_z
      - .offset:         488
        .size:           8
        .value_kind:     hidden_global_offset_x
      - .offset:         496
        .size:           8
        .value_kind:     hidden_global_offset_y
      - .offset:         504
        .size:           8
        .value_kind:     hidden_global_offset_z
      - .offset:         512
        .size:           2
        .value_kind:     hidden_grid_dims
    .group_segment_fixed_size: 0
    .kernarg_segment_align: 8
    .kernarg_segment_size: 704
    .language:       OpenCL C
    .language_version:
      - 2
      - 0
    .max_flat_workgroup_size: 1024
    .name:           _ZN2at6native12cross_kernelIN3c107complexIfEE16OffsetCalculatorILi3EjLb0EElEEviPT_PKS7_SA_T0_T1_SC_SC_
    .private_segment_fixed_size: 0
    .sgpr_count:     84
    .sgpr_spill_count: 0
    .symbol:         _ZN2at6native12cross_kernelIN3c107complexIfEE16OffsetCalculatorILi3EjLb0EElEEviPT_PKS7_SA_T0_T1_SC_SC_.kd
    .uniform_work_group_size: 1
    .uses_dynamic_stack: false
    .vgpr_count:     40
    .vgpr_spill_count: 0
    .wavefront_size: 64
  - .agpr_count:     0
    .args:
      - .offset:         0
        .size:           4
        .value_kind:     by_value
      - .address_space:  global
        .offset:         8
        .size:           8
        .value_kind:     global_buffer
      - .address_space:  global
        .offset:         16
        .size:           8
        .value_kind:     global_buffer
      - .address_space:  global
        .offset:         24
        .size:           8
        .value_kind:     global_buffer
      - .offset:         32
        .size:           388
        .value_kind:     by_value
      - .offset:         420
        .size:           4
        .value_kind:     by_value
      - .offset:         424
        .size:           4
        .value_kind:     by_value
      - .offset:         428
        .size:           4
        .value_kind:     by_value
      - .offset:         432
        .size:           4
        .value_kind:     hidden_block_count_x
      - .offset:         436
        .size:           4
        .value_kind:     hidden_block_count_y
      - .offset:         440
        .size:           4
        .value_kind:     hidden_block_count_z
      - .offset:         444
        .size:           2
        .value_kind:     hidden_group_size_x
      - .offset:         446
        .size:           2
        .value_kind:     hidden_group_size_y
      - .offset:         448
        .size:           2
        .value_kind:     hidden_group_size_z
      - .offset:         450
        .size:           2
        .value_kind:     hidden_remainder_x
      - .offset:         452
        .size:           2
        .value_kind:     hidden_remainder_y
      - .offset:         454
        .size:           2
        .value_kind:     hidden_remainder_z
      - .offset:         472
        .size:           8
        .value_kind:     hidden_global_offset_x
      - .offset:         480
        .size:           8
        .value_kind:     hidden_global_offset_y
      - .offset:         488
        .size:           8
        .value_kind:     hidden_global_offset_z
      - .offset:         496
        .size:           2
        .value_kind:     hidden_grid_dims
    .group_segment_fixed_size: 0
    .kernarg_segment_align: 8
    .kernarg_segment_size: 688
    .language:       OpenCL C
    .language_version:
      - 2
      - 0
    .max_flat_workgroup_size: 1024
    .name:           _ZN2at6native12cross_kernelIN3c107complexIfEE16OffsetCalculatorILi3EjLb0EEiEEviPT_PKS7_SA_T0_T1_SC_SC_
    .private_segment_fixed_size: 0
    .sgpr_count:     84
    .sgpr_spill_count: 0
    .symbol:         _ZN2at6native12cross_kernelIN3c107complexIfEE16OffsetCalculatorILi3EjLb0EEiEEviPT_PKS7_SA_T0_T1_SC_SC_.kd
    .uniform_work_group_size: 1
    .uses_dynamic_stack: false
    .vgpr_count:     40
    .vgpr_spill_count: 0
    .wavefront_size: 64
  - .agpr_count:     0
    .args:
      - .offset:         0
        .size:           4
        .value_kind:     by_value
      - .address_space:  global
        .offset:         8
        .size:           8
        .value_kind:     global_buffer
      - .address_space:  global
        .offset:         16
        .size:           8
        .value_kind:     global_buffer
      - .address_space:  global
        .offset:         24
        .size:           8
        .value_kind:     global_buffer
      - .offset:         32
        .size:           388
        .value_kind:     by_value
      - .offset:         424
        .size:           8
        .value_kind:     by_value
      - .offset:         432
        .size:           8
        .value_kind:     by_value
      - .offset:         440
        .size:           8
        .value_kind:     by_value
      - .offset:         448
        .size:           4
        .value_kind:     hidden_block_count_x
      - .offset:         452
        .size:           4
        .value_kind:     hidden_block_count_y
      - .offset:         456
        .size:           4
        .value_kind:     hidden_block_count_z
      - .offset:         460
        .size:           2
        .value_kind:     hidden_group_size_x
      - .offset:         462
        .size:           2
        .value_kind:     hidden_group_size_y
      - .offset:         464
        .size:           2
        .value_kind:     hidden_group_size_z
      - .offset:         466
        .size:           2
        .value_kind:     hidden_remainder_x
      - .offset:         468
        .size:           2
        .value_kind:     hidden_remainder_y
      - .offset:         470
        .size:           2
        .value_kind:     hidden_remainder_z
      - .offset:         488
        .size:           8
        .value_kind:     hidden_global_offset_x
      - .offset:         496
        .size:           8
        .value_kind:     hidden_global_offset_y
      - .offset:         504
        .size:           8
        .value_kind:     hidden_global_offset_z
      - .offset:         512
        .size:           2
        .value_kind:     hidden_grid_dims
    .group_segment_fixed_size: 0
    .kernarg_segment_align: 8
    .kernarg_segment_size: 704
    .language:       OpenCL C
    .language_version:
      - 2
      - 0
    .max_flat_workgroup_size: 1024
    .name:           _ZN2at6native12cross_kernelIN3c104HalfE16OffsetCalculatorILi3EjLb0EElEEviPT_PKS6_S9_T0_T1_SB_SB_
    .private_segment_fixed_size: 0
    .sgpr_count:     84
    .sgpr_spill_count: 0
    .symbol:         _ZN2at6native12cross_kernelIN3c104HalfE16OffsetCalculatorILi3EjLb0EElEEviPT_PKS6_S9_T0_T1_SB_SB_.kd
    .uniform_work_group_size: 1
    .uses_dynamic_stack: false
    .vgpr_count:     18
    .vgpr_spill_count: 0
    .wavefront_size: 64
  - .agpr_count:     0
    .args:
      - .offset:         0
        .size:           4
        .value_kind:     by_value
      - .address_space:  global
        .offset:         8
        .size:           8
        .value_kind:     global_buffer
      - .address_space:  global
        .offset:         16
        .size:           8
        .value_kind:     global_buffer
      - .address_space:  global
        .offset:         24
        .size:           8
        .value_kind:     global_buffer
      - .offset:         32
        .size:           388
        .value_kind:     by_value
      - .offset:         420
        .size:           4
        .value_kind:     by_value
      - .offset:         424
        .size:           4
        .value_kind:     by_value
      - .offset:         428
        .size:           4
        .value_kind:     by_value
      - .offset:         432
        .size:           4
        .value_kind:     hidden_block_count_x
      - .offset:         436
        .size:           4
        .value_kind:     hidden_block_count_y
      - .offset:         440
        .size:           4
        .value_kind:     hidden_block_count_z
      - .offset:         444
        .size:           2
        .value_kind:     hidden_group_size_x
      - .offset:         446
        .size:           2
        .value_kind:     hidden_group_size_y
      - .offset:         448
        .size:           2
        .value_kind:     hidden_group_size_z
      - .offset:         450
        .size:           2
        .value_kind:     hidden_remainder_x
      - .offset:         452
        .size:           2
        .value_kind:     hidden_remainder_y
      - .offset:         454
        .size:           2
        .value_kind:     hidden_remainder_z
      - .offset:         472
        .size:           8
        .value_kind:     hidden_global_offset_x
      - .offset:         480
        .size:           8
        .value_kind:     hidden_global_offset_y
      - .offset:         488
        .size:           8
        .value_kind:     hidden_global_offset_z
      - .offset:         496
        .size:           2
        .value_kind:     hidden_grid_dims
    .group_segment_fixed_size: 0
    .kernarg_segment_align: 8
    .kernarg_segment_size: 688
    .language:       OpenCL C
    .language_version:
      - 2
      - 0
    .max_flat_workgroup_size: 1024
    .name:           _ZN2at6native12cross_kernelIN3c104HalfE16OffsetCalculatorILi3EjLb0EEiEEviPT_PKS6_S9_T0_T1_SB_SB_
    .private_segment_fixed_size: 0
    .sgpr_count:     84
    .sgpr_spill_count: 0
    .symbol:         _ZN2at6native12cross_kernelIN3c104HalfE16OffsetCalculatorILi3EjLb0EEiEEviPT_PKS6_S9_T0_T1_SB_SB_.kd
    .uniform_work_group_size: 1
    .uses_dynamic_stack: false
    .vgpr_count:     18
    .vgpr_spill_count: 0
    .wavefront_size: 64
  - .agpr_count:     0
    .args:
      - .offset:         0
        .size:           4
        .value_kind:     by_value
      - .address_space:  global
        .offset:         8
        .size:           8
        .value_kind:     global_buffer
      - .address_space:  global
        .offset:         16
        .size:           8
        .value_kind:     global_buffer
      - .address_space:  global
        .offset:         24
        .size:           8
        .value_kind:     global_buffer
      - .offset:         32
        .size:           388
        .value_kind:     by_value
      - .offset:         424
        .size:           8
        .value_kind:     by_value
      - .offset:         432
        .size:           8
        .value_kind:     by_value
      - .offset:         440
        .size:           8
        .value_kind:     by_value
      - .offset:         448
        .size:           4
        .value_kind:     hidden_block_count_x
      - .offset:         452
        .size:           4
        .value_kind:     hidden_block_count_y
      - .offset:         456
        .size:           4
        .value_kind:     hidden_block_count_z
      - .offset:         460
        .size:           2
        .value_kind:     hidden_group_size_x
      - .offset:         462
        .size:           2
        .value_kind:     hidden_group_size_y
      - .offset:         464
        .size:           2
        .value_kind:     hidden_group_size_z
      - .offset:         466
        .size:           2
        .value_kind:     hidden_remainder_x
      - .offset:         468
        .size:           2
        .value_kind:     hidden_remainder_y
      - .offset:         470
        .size:           2
        .value_kind:     hidden_remainder_z
      - .offset:         488
        .size:           8
        .value_kind:     hidden_global_offset_x
      - .offset:         496
        .size:           8
        .value_kind:     hidden_global_offset_y
      - .offset:         504
        .size:           8
        .value_kind:     hidden_global_offset_z
      - .offset:         512
        .size:           2
        .value_kind:     hidden_grid_dims
    .group_segment_fixed_size: 0
    .kernarg_segment_align: 8
    .kernarg_segment_size: 704
    .language:       OpenCL C
    .language_version:
      - 2
      - 0
    .max_flat_workgroup_size: 1024
    .name:           _ZN2at6native12cross_kernelIN3c108BFloat16E16OffsetCalculatorILi3EjLb0EElEEviPT_PKS6_S9_T0_T1_SB_SB_
    .private_segment_fixed_size: 0
    .sgpr_count:     85
    .sgpr_spill_count: 0
    .symbol:         _ZN2at6native12cross_kernelIN3c108BFloat16E16OffsetCalculatorILi3EjLb0EElEEviPT_PKS6_S9_T0_T1_SB_SB_.kd
    .uniform_work_group_size: 1
    .uses_dynamic_stack: false
    .vgpr_count:     24
    .vgpr_spill_count: 0
    .wavefront_size: 64
  - .agpr_count:     0
    .args:
      - .offset:         0
        .size:           4
        .value_kind:     by_value
      - .address_space:  global
        .offset:         8
        .size:           8
        .value_kind:     global_buffer
      - .address_space:  global
        .offset:         16
        .size:           8
        .value_kind:     global_buffer
      - .address_space:  global
        .offset:         24
        .size:           8
        .value_kind:     global_buffer
      - .offset:         32
        .size:           388
        .value_kind:     by_value
      - .offset:         420
        .size:           4
        .value_kind:     by_value
      - .offset:         424
        .size:           4
        .value_kind:     by_value
      - .offset:         428
        .size:           4
        .value_kind:     by_value
      - .offset:         432
        .size:           4
        .value_kind:     hidden_block_count_x
      - .offset:         436
        .size:           4
        .value_kind:     hidden_block_count_y
      - .offset:         440
        .size:           4
        .value_kind:     hidden_block_count_z
      - .offset:         444
        .size:           2
        .value_kind:     hidden_group_size_x
      - .offset:         446
        .size:           2
        .value_kind:     hidden_group_size_y
      - .offset:         448
        .size:           2
        .value_kind:     hidden_group_size_z
      - .offset:         450
        .size:           2
        .value_kind:     hidden_remainder_x
      - .offset:         452
        .size:           2
        .value_kind:     hidden_remainder_y
      - .offset:         454
        .size:           2
        .value_kind:     hidden_remainder_z
      - .offset:         472
        .size:           8
        .value_kind:     hidden_global_offset_x
      - .offset:         480
        .size:           8
        .value_kind:     hidden_global_offset_y
      - .offset:         488
        .size:           8
        .value_kind:     hidden_global_offset_z
      - .offset:         496
        .size:           2
        .value_kind:     hidden_grid_dims
    .group_segment_fixed_size: 0
    .kernarg_segment_align: 8
    .kernarg_segment_size: 688
    .language:       OpenCL C
    .language_version:
      - 2
      - 0
    .max_flat_workgroup_size: 1024
    .name:           _ZN2at6native12cross_kernelIN3c108BFloat16E16OffsetCalculatorILi3EjLb0EEiEEviPT_PKS6_S9_T0_T1_SB_SB_
    .private_segment_fixed_size: 0
    .sgpr_count:     85
    .sgpr_spill_count: 0
    .symbol:         _ZN2at6native12cross_kernelIN3c108BFloat16E16OffsetCalculatorILi3EjLb0EEiEEviPT_PKS6_S9_T0_T1_SB_SB_.kd
    .uniform_work_group_size: 1
    .uses_dynamic_stack: false
    .vgpr_count:     24
    .vgpr_spill_count: 0
    .wavefront_size: 64
amdhsa.target:   amdgcn-amd-amdhsa--gfx950
amdhsa.version:
  - 1
  - 2
...

	.end_amdgpu_metadata
